;; amdgpu-corpus repo=zjin-lcf/HeCBench kind=compiled arch=gfx906 opt=O3
	.amdgcn_target "amdgcn-amd-amdhsa--gfx906"
	.amdhsa_code_object_version 6
	.section	.text._Z24reshape_and_cache_kernelIfhL18Fp8KVCacheDataType1EEvPKT_S3_PT0_S5_PKliiiiiiff,"axG",@progbits,_Z24reshape_and_cache_kernelIfhL18Fp8KVCacheDataType1EEvPKT_S3_PT0_S5_PKliiiiiiff,comdat
	.protected	_Z24reshape_and_cache_kernelIfhL18Fp8KVCacheDataType1EEvPKT_S3_PT0_S5_PKliiiiiiff ; -- Begin function _Z24reshape_and_cache_kernelIfhL18Fp8KVCacheDataType1EEvPKT_S3_PT0_S5_PKliiiiiiff
	.globl	_Z24reshape_and_cache_kernelIfhL18Fp8KVCacheDataType1EEvPKT_S3_PT0_S5_PKliiiiiiff
	.p2align	8
	.type	_Z24reshape_and_cache_kernelIfhL18Fp8KVCacheDataType1EEvPKT_S3_PT0_S5_PKliiiiiiff,@function
_Z24reshape_and_cache_kernelIfhL18Fp8KVCacheDataType1EEvPKT_S3_PT0_S5_PKliiiiiiff: ; @_Z24reshape_and_cache_kernelIfhL18Fp8KVCacheDataType1EEvPKT_S3_PT0_S5_PKliiiiiiff
; %bb.0:
	s_load_dwordx2 s[0:1], s[4:5], 0x20
	s_mov_b32 s7, 0
	s_lshl_b64 s[2:3], s[6:7], 3
	s_waitcnt lgkmcnt(0)
	s_add_u32 s0, s0, s2
	s_addc_u32 s1, s1, s3
	s_load_dwordx2 s[0:1], s[0:1], 0x0
	s_waitcnt lgkmcnt(0)
	v_cmp_lt_i64_e64 s[2:3], s[0:1], 0
	s_and_b64 vcc, exec, s[2:3]
	s_cbranch_vccnz .LBB0_179
; %bb.1:
	s_load_dwordx8 s[8:15], s[4:5], 0x28
	s_waitcnt lgkmcnt(0)
	s_ashr_i32 s3, s12, 31
	s_mov_b32 s2, s12
	s_or_b64 s[16:17], s[0:1], s[2:3]
	s_mov_b32 s16, s7
	s_cmp_lg_u64 s[16:17], 0
	s_cbranch_scc0 .LBB0_180
; %bb.2:
	s_ashr_i32 s16, s3, 31
	s_add_u32 s18, s2, s16
	s_mov_b32 s17, s16
	s_addc_u32 s19, s3, s16
	s_xor_b64 s[20:21], s[18:19], s[16:17]
	v_cvt_f32_u32_e32 v1, s20
	v_cvt_f32_u32_e32 v2, s21
	s_sub_u32 s7, 0, s20
	s_subb_u32 s24, 0, s21
	v_madmk_f32 v1, v2, 0x4f800000, v1
	v_rcp_f32_e32 v1, v1
	v_mul_f32_e32 v1, 0x5f7ffffc, v1
	v_mul_f32_e32 v2, 0x2f800000, v1
	v_trunc_f32_e32 v2, v2
	v_madmk_f32 v1, v2, 0xcf800000, v1
	v_cvt_u32_f32_e32 v2, v2
	v_cvt_u32_f32_e32 v1, v1
	v_readfirstlane_b32 s25, v2
	v_readfirstlane_b32 s22, v1
	s_mul_i32 s23, s7, s25
	s_mul_hi_u32 s27, s7, s22
	s_mul_i32 s26, s24, s22
	s_add_i32 s23, s27, s23
	s_add_i32 s23, s23, s26
	s_mul_i32 s28, s7, s22
	s_mul_i32 s27, s22, s23
	s_mul_hi_u32 s29, s22, s28
	s_mul_hi_u32 s26, s22, s23
	s_add_u32 s27, s29, s27
	s_addc_u32 s26, 0, s26
	s_mul_hi_u32 s30, s25, s28
	s_mul_i32 s28, s25, s28
	s_add_u32 s27, s27, s28
	s_mul_hi_u32 s29, s25, s23
	s_addc_u32 s26, s26, s30
	s_addc_u32 s27, s29, 0
	s_mul_i32 s23, s25, s23
	s_add_u32 s23, s26, s23
	s_addc_u32 s26, 0, s27
	s_add_u32 s27, s22, s23
	s_cselect_b64 s[22:23], -1, 0
	s_cmp_lg_u64 s[22:23], 0
	s_addc_u32 s25, s25, s26
	s_mul_i32 s22, s7, s25
	s_mul_hi_u32 s23, s7, s27
	s_add_i32 s22, s23, s22
	s_mul_i32 s24, s24, s27
	s_add_i32 s22, s22, s24
	s_mul_i32 s7, s7, s27
	s_mul_hi_u32 s24, s25, s7
	s_mul_i32 s26, s25, s7
	s_mul_i32 s29, s27, s22
	s_mul_hi_u32 s7, s27, s7
	s_mul_hi_u32 s28, s27, s22
	s_add_u32 s7, s7, s29
	s_addc_u32 s28, 0, s28
	s_add_u32 s7, s7, s26
	s_mul_hi_u32 s23, s25, s22
	s_addc_u32 s7, s28, s24
	s_addc_u32 s23, s23, 0
	s_mul_i32 s22, s25, s22
	s_add_u32 s7, s7, s22
	s_addc_u32 s24, 0, s23
	s_add_u32 s7, s27, s7
	s_cselect_b64 s[22:23], -1, 0
	s_cmp_lg_u64 s[22:23], 0
	s_addc_u32 s26, s25, s24
	s_ashr_i32 s22, s1, 31
	s_add_u32 s24, s0, s22
	s_mov_b32 s23, s22
	s_addc_u32 s25, s1, s22
	s_xor_b64 s[24:25], s[24:25], s[22:23]
	s_mul_i32 s28, s24, s26
	s_mul_hi_u32 s29, s24, s7
	s_mul_hi_u32 s27, s24, s26
	s_add_u32 s28, s29, s28
	s_addc_u32 s27, 0, s27
	s_mul_hi_u32 s30, s25, s7
	s_mul_i32 s7, s25, s7
	s_add_u32 s7, s28, s7
	s_mul_hi_u32 s29, s25, s26
	s_addc_u32 s7, s27, s30
	s_addc_u32 s27, s29, 0
	s_mul_i32 s26, s25, s26
	s_add_u32 s7, s7, s26
	s_addc_u32 s30, 0, s27
	s_mul_i32 s26, s20, s30
	s_mul_hi_u32 s27, s20, s7
	s_add_i32 s26, s27, s26
	s_mul_i32 s27, s21, s7
	s_add_i32 s31, s26, s27
	s_sub_i32 s28, s25, s31
	s_mul_i32 s26, s20, s7
	s_sub_u32 s24, s24, s26
	s_cselect_b64 s[26:27], -1, 0
	s_cmp_lg_u64 s[26:27], 0
	s_subb_u32 s33, s28, s21
	s_sub_u32 s34, s24, s20
	s_cselect_b64 s[28:29], -1, 0
	s_cmp_lg_u64 s[28:29], 0
	s_subb_u32 s28, s33, 0
	s_cmp_ge_u32 s28, s21
	s_cselect_b32 s29, -1, 0
	s_cmp_ge_u32 s34, s20
	s_cselect_b32 s33, -1, 0
	s_cmp_eq_u32 s28, s21
	s_cselect_b32 s28, s33, s29
	s_add_u32 s29, s7, 1
	s_addc_u32 s33, s30, 0
	s_add_u32 s34, s7, 2
	s_addc_u32 s35, s30, 0
	s_cmp_lg_u32 s28, 0
	s_cselect_b32 s28, s34, s29
	s_cselect_b32 s29, s35, s33
	s_cmp_lg_u64 s[26:27], 0
	s_subb_u32 s25, s25, s31
	s_cmp_ge_u32 s25, s21
	s_cselect_b32 s26, -1, 0
	s_cmp_ge_u32 s24, s20
	s_cselect_b32 s20, -1, 0
	s_cmp_eq_u32 s25, s21
	s_cselect_b32 s20, s20, s26
	s_cmp_lg_u32 s20, 0
	s_cselect_b32 s21, s29, s30
	s_cselect_b32 s20, s28, s7
	s_xor_b64 s[16:17], s[22:23], s[16:17]
	s_xor_b64 s[20:21], s[20:21], s[16:17]
	s_sub_u32 s24, s20, s16
	s_subb_u32 s25, s21, s17
	s_cbranch_execnz .LBB0_4
.LBB0_3:
	v_cvt_f32_u32_e32 v1, s2
	s_sub_i32 s7, 0, s2
	s_mov_b32 s25, 0
	v_rcp_iflag_f32_e32 v1, v1
	v_mul_f32_e32 v1, 0x4f7ffffe, v1
	v_cvt_u32_f32_e32 v1, v1
	v_readfirstlane_b32 s16, v1
	s_mul_i32 s7, s7, s16
	s_mul_hi_u32 s7, s16, s7
	s_add_i32 s16, s16, s7
	s_mul_hi_u32 s7, s0, s16
	s_mul_i32 s17, s7, s2
	s_sub_i32 s17, s0, s17
	s_add_i32 s16, s7, 1
	s_sub_i32 s18, s17, s2
	s_cmp_ge_u32 s17, s2
	s_cselect_b32 s7, s16, s7
	s_cselect_b32 s17, s18, s17
	s_add_i32 s16, s7, 1
	s_cmp_ge_u32 s17, s2
	s_cselect_b32 s24, s16, s7
.LBB0_4:
	s_abs_i32 s7, s13
	v_cvt_f32_u32_e32 v1, s7
	s_sub_i32 s18, 0, s7
	s_abs_i32 s17, s11
	s_xor_b32 s16, s11, s13
	v_rcp_iflag_f32_e32 v1, v1
	s_ashr_i32 s16, s16, 31
	v_mul_f32_e32 v1, 0x4f7ffffe, v1
	v_cvt_u32_f32_e32 v1, v1
	v_readfirstlane_b32 s19, v1
	s_mul_i32 s18, s18, s19
	s_mul_hi_u32 s18, s19, s18
	s_add_i32 s19, s19, s18
	s_mul_hi_u32 s18, s17, s19
	s_mul_i32 s19, s18, s7
	s_sub_i32 s17, s17, s19
	s_add_i32 s20, s18, 1
	s_sub_i32 s19, s17, s7
	s_cmp_ge_u32 s17, s7
	s_cselect_b32 s18, s20, s18
	s_cselect_b32 s17, s19, s17
	s_add_i32 s19, s18, 1
	s_cmp_ge_u32 s17, s7
	s_cselect_b32 s7, s19, s18
	s_xor_b32 s7, s7, s16
	s_sub_i32 s33, s7, s16
	s_mul_i32 s38, s33, s10
	v_cmp_gt_i32_e32 vcc, s38, v0
	s_and_saveexec_b64 s[16:17], vcc
	s_cbranch_execz .LBB0_179
; %bb.5:
	s_mul_i32 s3, s24, s3
	s_mul_hi_u32 s7, s24, s2
	s_add_i32 s3, s7, s3
	s_mul_i32 s7, s25, s2
	s_add_i32 s28, s3, s7
	s_mul_i32 s29, s24, s2
	s_load_dwordx8 s[16:23], s[4:5], 0x0
	s_sub_u32 s39, s0, s29
	s_subb_u32 s40, s1, s28
	s_ashr_i32 s3, s8, 31
	s_mul_hi_u32 s7, s8, s6
	s_mul_i32 s3, s3, s6
	s_add_i32 s27, s7, s3
	s_mul_i32 s26, s8, s6
	s_lshl_b64 s[26:27], s[26:27], 2
	s_waitcnt lgkmcnt(0)
	s_add_u32 s41, s16, s26
	s_addc_u32 s42, s17, s27
	s_ashr_i32 s3, s9, 31
	s_mul_hi_u32 s7, s9, s6
	s_mul_i32 s3, s3, s6
	s_add_i32 s7, s7, s3
	s_mul_i32 s3, s38, s25
	s_mul_hi_u32 s8, s38, s24
	s_mul_hi_i32 s16, s10, s33
	s_add_i32 s3, s8, s3
	s_mul_i32 s8, s16, s24
	s_mul_i32 s6, s9, s6
	s_add_i32 s3, s3, s8
	s_mul_i32 s8, s38, s24
	s_mul_hi_i32 s9, s13, s2
	s_mul_i32 s2, s13, s2
	s_mul_hi_u32 s10, s2, s8
	s_mul_i32 s3, s2, s3
	s_add_i32 s3, s10, s3
	s_mul_i32 s9, s9, s8
	s_ashr_i32 s17, s13, 31
	s_add_i32 s24, s3, s9
	s_mul_i32 s25, s2, s8
	s_and_b32 s2, s13, 3
	s_cmp_eq_u32 s2, 0
	s_cselect_b64 s[8:9], -1, 0
	s_ashr_i32 s10, s13, 2
	s_cmp_gt_i32 s10, 0
	s_cselect_b64 s[2:3], -1, 0
	s_lshl_b64 s[6:7], s[6:7], 2
	s_add_u32 s43, s18, s6
	s_addc_u32 s44, s19, s7
	s_add_u32 s45, s22, s25
	s_addc_u32 s46, s23, s24
	s_cmp_gt_i32 s13, 0
	s_cselect_b64 s[6:7], -1, 0
	s_abs_i32 s47, s33
	v_cvt_f32_u32_e32 v1, s47
	s_load_dword s4, s[4:5], 0x54
	s_sub_i32 s18, 0, s47
	s_ashr_i32 s50, s33, 31
	v_rcp_iflag_f32_e32 v1, v1
	s_mul_i32 s48, s13, s12
	s_waitcnt lgkmcnt(0)
	s_and_b32 s49, s4, 0xffff
	s_add_u32 s4, s38, -1
	v_mul_f32_e32 v1, 0x4f7ffffe, v1
	v_cvt_u32_f32_e32 v1, v1
	s_addc_u32 s5, s16, -1
	s_mul_i32 s5, s29, s5
	s_mul_hi_u32 s16, s29, s4
	s_mul_i32 s28, s28, s4
	s_add_i32 s5, s16, s5
	v_mul_lo_u32 v2, s18, v1
	s_add_i32 s5, s5, s28
	s_mul_i32 s29, s29, s4
	s_add_u32 s0, s0, s29
	s_addc_u32 s1, s1, s5
	s_mul_i32 s4, s0, s17
	s_mul_hi_u32 s5, s0, s13
	s_add_i32 s4, s5, s4
	s_mul_i32 s1, s1, s13
	v_mul_hi_u32 v2, v1, v2
	s_add_i32 s4, s4, s1
	s_mul_i32 s0, s0, s13
	s_add_u32 s51, s20, s0
	s_addc_u32 s52, s21, s4
	s_add_u32 s53, s41, 8
	v_add_u32_e32 v21, v1, v2
	v_mov_b32_e32 v6, 0
	s_addc_u32 s54, s42, 0
	s_mov_b64 s[4:5], 0
	v_mov_b32_e32 v22, s42
	s_xor_b64 s[8:9], s[8:9], -1
	s_mov_b64 s[16:17], 0x7f800000
	s_mov_b64 s[18:19], 0x43700001
	s_movk_i32 s55, 0x79
	s_mov_b64 s[20:21], 0xffffff
	s_movk_i32 s56, 0x80
	s_movk_i32 s57, 0x7f
	v_mov_b32_e32 v23, 0x77
	v_mov_b32_e32 v24, 0xffffff82
	s_branch .LBB0_7
.LBB0_6:                                ;   in Loop: Header=BB0_7 Depth=1
	v_add_u32_e32 v0, s49, v0
	v_cmp_le_i32_e32 vcc, s38, v0
	s_or_b64 s[4:5], vcc, s[4:5]
	s_andn2_b64 exec, exec, s[4:5]
	s_cbranch_execz .LBB0_179
.LBB0_7:                                ; =>This Loop Header: Depth=1
                                        ;     Child Loop BB0_12 Depth 2
                                        ;     Child Loop BB0_29 Depth 2
	;; [unrolled: 1-line block ×5, first 2 shown]
	v_sub_u32_e32 v1, 0, v0
	v_max_i32_e32 v1, v0, v1
	v_mul_hi_u32 v2, v1, v21
	v_ashrrev_i32_e32 v4, 31, v0
	v_xor_b32_e32 v4, s50, v4
	v_mul_lo_u32 v3, v2, s47
	v_add_u32_e32 v5, 1, v2
	v_sub_u32_e32 v1, v1, v3
	v_cmp_le_u32_e32 vcc, s47, v1
	v_subrev_u32_e32 v3, s47, v1
	v_cndmask_b32_e32 v2, v2, v5, vcc
	v_cndmask_b32_e32 v1, v1, v3, vcc
	v_add_u32_e32 v3, 1, v2
	v_cmp_le_u32_e32 vcc, s47, v1
	v_cndmask_b32_e32 v1, v2, v3, vcc
	v_xor_b32_e32 v1, v1, v4
	v_sub_u32_e32 v1, v1, v4
	v_mul_lo_u32 v3, v1, s33
	v_mul_lo_u32 v1, v1, s11
	v_sub_u32_e32 v4, v0, v3
	v_mul_lo_u32 v11, v4, s13
	v_ashrrev_i32_e32 v2, 31, v1
	v_lshlrev_b64 v[7:8], 2, v[1:2]
	v_mul_lo_u32 v25, v3, s48
	v_ashrrev_i32_e32 v12, 31, v11
	v_add_co_u32_e32 v1, vcc, s41, v7
	v_lshlrev_b64 v[9:10], 2, v[11:12]
	v_addc_co_u32_e32 v2, vcc, v22, v8, vcc
	v_add_co_u32_e32 v1, vcc, v1, v9
	v_mul_lo_u32 v27, s48, v4
	v_addc_co_u32_e32 v2, vcc, v2, v10, vcc
	v_and_b32_e32 v5, 15, v1
	v_cmp_ne_u64_e32 vcc, 0, v[5:6]
	v_ashrrev_i32_e32 v26, 31, v25
	v_ashrrev_i32_e32 v28, 31, v27
	s_or_b64 s[0:1], s[8:9], vcc
	s_and_saveexec_b64 s[22:23], s[0:1]
	s_xor_b64 s[22:23], exec, s[22:23]
	s_cbranch_execz .LBB0_102
; %bb.8:                                ;   in Loop: Header=BB0_7 Depth=1
	v_sub_u32_e32 v3, 0, v1
	v_bfe_u32 v3, v3, 2, 2
	v_min_i32_e32 v12, s13, v3
	v_cmp_lt_i32_e32 vcc, 0, v12
	s_and_saveexec_b64 s[24:25], vcc
	s_cbranch_execz .LBB0_25
; %bb.9:                                ;   in Loop: Header=BB0_7 Depth=1
	v_add_co_u32_e32 v3, vcc, v25, v27
	v_addc_co_u32_e32 v4, vcc, v26, v28, vcc
	v_mov_b32_e32 v5, s52
	v_add_co_u32_e32 v3, vcc, s51, v3
	v_mov_b32_e32 v14, v2
	v_addc_co_u32_e32 v4, vcc, v5, v4, vcc
	s_mov_b64 s[26:27], 0
	v_mov_b32_e32 v13, v1
	v_mov_b32_e32 v18, v12
	s_branch .LBB0_12
.LBB0_10:                               ;   in Loop: Header=BB0_12 Depth=2
	s_or_b64 exec, exec, s[0:1]
.LBB0_11:                               ;   in Loop: Header=BB0_12 Depth=2
	s_or_b64 exec, exec, s[28:29]
	v_add_co_u32_e32 v13, vcc, 4, v13
	v_add_u32_e32 v18, -1, v18
	v_addc_co_u32_e32 v14, vcc, 0, v14, vcc
	v_cmp_eq_u32_e32 vcc, 0, v18
	global_store_byte v[3:4], v5, off
	s_or_b64 s[26:27], vcc, s[26:27]
	v_add_co_u32_e32 v3, vcc, 1, v3
	v_addc_co_u32_e32 v4, vcc, 0, v4, vcc
	s_andn2_b64 exec, exec, s[26:27]
	s_cbranch_execz .LBB0_25
.LBB0_12:                               ;   Parent Loop BB0_7 Depth=1
                                        ; =>  This Inner Loop Header: Depth=2
	global_load_dword v5, v[13:14], off
	s_waitcnt vmcnt(0)
	v_div_scale_f32 v15, s[0:1], s14, s14, v5
	v_div_scale_f32 v16, vcc, v5, s14, v5
	v_rcp_f32_e32 v17, v15
	v_fma_f32 v19, -v15, v17, 1.0
	v_fmac_f32_e32 v17, v19, v17
	v_mul_f32_e32 v19, v16, v17
	v_fma_f32 v20, -v15, v19, v16
	v_fmac_f32_e32 v19, v20, v17
	v_fma_f32 v15, -v15, v19, v16
	v_div_fmas_f32 v15, v15, v17, v19
	v_div_fixup_f32 v19, v15, s14, v5
	v_and_b32_e32 v5, 0x7f800000, v19
	v_cmp_ne_u64_e32 vcc, s[16:17], v[5:6]
	v_mov_b32_e32 v5, 0x80
	s_and_saveexec_b64 s[28:29], vcc
	s_cbranch_execz .LBB0_11
; %bb.13:                               ;   in Loop: Header=BB0_12 Depth=2
	v_and_b32_e32 v5, 0x7fffffff, v19
	v_cmp_gt_u64_e32 vcc, s[18:19], v[5:6]
                                        ; implicit-def: $vgpr5
	s_and_saveexec_b64 s[0:1], vcc
	s_xor_b64 s[30:31], exec, s[0:1]
	s_cbranch_execz .LBB0_23
; %bb.14:                               ;   in Loop: Header=BB0_12 Depth=2
	v_cmp_ne_u32_e32 vcc, 0, v19
	v_mov_b32_e32 v5, 0
	s_and_saveexec_b64 s[34:35], vcc
	s_cbranch_execz .LBB0_22
; %bb.15:                               ;   in Loop: Header=BB0_12 Depth=2
	v_bfe_u32 v20, v19, 23, 8
	v_sub_u32_e32 v15, 0x78, v20
	v_cmp_gt_u32_e32 vcc, s55, v20
	v_cndmask_b32_e32 v15, 0, v15, vcc
	v_cmp_eq_u32_e32 vcc, 0, v20
	v_cndmask_b32_e32 v29, v15, v23, vcc
	v_and_b32_e32 v5, 0x7fffff, v19
	v_add_u32_e32 v15, 20, v29
	v_or_b32_e32 v17, 0x800000, v5
	v_lshlrev_b64 v[15:16], v15, -1
	v_cndmask_b32_e32 v5, v17, v5, vcc
	v_bfi_b32 v30, v15, 0, v5
	v_add_u32_e32 v15, 19, v29
	v_bfi_b32 v31, v16, 0, 0
	v_lshlrev_b64 v[32:33], v15, 1
	v_lshrrev_b64 v[15:16], v29, v[5:6]
	v_cmp_eq_u64_e64 s[0:1], v[30:31], v[32:33]
	v_mov_b32_e32 v17, v16
	v_mov_b32_e32 v16, v15
	s_and_saveexec_b64 s[36:37], s[0:1]
; %bb.16:                               ;   in Loop: Header=BB0_12 Depth=2
	v_bfe_u32 v5, v15, 20, 1
	v_add_co_u32_e64 v5, s[0:1], v15, v5
	v_add_co_u32_e64 v16, s[0:1], -1, v5
; %bb.17:                               ;   in Loop: Header=BB0_12 Depth=2
	s_or_b64 exec, exec, s[36:37]
	v_add_u32_e32 v5, 0xffffff81, v20
	v_cndmask_b32_e32 v5, v5, v24, vcc
	v_lshrrev_b32_e32 v17, 23, v15
	v_add3_u32 v29, v29, v5, v17
	v_add_u32_e32 v20, 7, v29
	v_and_b32_e32 v5, 0xfffff, v16
	v_add_u32_e32 v5, v5, v15
	v_cmp_ne_u32_e32 vcc, 0, v20
                                        ; implicit-def: $vgpr15_vgpr16
                                        ; implicit-def: $vgpr17
	s_and_saveexec_b64 s[0:1], vcc
	s_xor_b64 s[0:1], exec, s[0:1]
; %bb.18:                               ;   in Loop: Header=BB0_12 Depth=2
	v_cmp_lt_u64_e32 vcc, s[20:21], v[5:6]
	v_add_u32_e32 v15, 8, v29
	v_cndmask_b32_e32 v17, v20, v15, vcc
	v_cndmask_b32_e64 v15, 0, 1, vcc
	v_lshrrev_b64 v[15:16], v15, v[5:6]
; %bb.19:                               ;   in Loop: Header=BB0_12 Depth=2
	s_andn2_saveexec_b64 s[0:1], s[0:1]
; %bb.20:                               ;   in Loop: Header=BB0_12 Depth=2
	v_mov_b32_e32 v16, v6
	v_bfe_u32 v17, v5, 23, 1
	v_mov_b32_e32 v15, v5
; %bb.21:                               ;   in Loop: Header=BB0_12 Depth=2
	s_or_b64 exec, exec, s[0:1]
	v_lshrrev_b64 v[15:16], 20, v[15:16]
	v_cmp_gt_i32_e32 vcc, 16, v17
	v_cndmask_b32_e32 v16, 0, v16, vcc
	v_cndmask_b32_e32 v15, 7, v15, vcc
	v_and_b32_sdwa v5, v19, s56 dst_sel:DWORD dst_unused:UNUSED_PAD src0_sel:BYTE_3 src1_sel:DWORD
	v_min_i32_e32 v19, 15, v17
	v_cmp_eq_u64_e64 s[0:1], 0, v[15:16]
	v_cmp_eq_u32_e32 vcc, 0, v17
	v_lshl_or_b32 v5, v19, 3, v5
	v_and_or_b32 v5, v15, 7, v5
	s_and_b64 s[0:1], vcc, s[0:1]
	v_cndmask_b32_e64 v5, v5, 0, s[0:1]
.LBB0_22:                               ;   in Loop: Header=BB0_12 Depth=2
	s_or_b64 exec, exec, s[34:35]
                                        ; implicit-def: $vgpr19
.LBB0_23:                               ;   in Loop: Header=BB0_12 Depth=2
	s_andn2_saveexec_b64 s[0:1], s[30:31]
	s_cbranch_execz .LBB0_10
; %bb.24:                               ;   in Loop: Header=BB0_12 Depth=2
	v_or_b32_sdwa v5, v19, s57 dst_sel:DWORD dst_unused:UNUSED_PAD src0_sel:BYTE_3 src1_sel:DWORD
	s_branch .LBB0_10
.LBB0_25:                               ;   in Loop: Header=BB0_7 Depth=1
	s_or_b64 exec, exec, s[24:25]
	v_sub_u32_e32 v29, s13, v12
	v_ashrrev_i32_e32 v3, 31, v29
	v_lshrrev_b32_e32 v3, 30, v3
	v_add_u32_e32 v3, v29, v3
	v_ashrrev_i32_e32 v13, 31, v12
	v_ashrrev_i32_e32 v30, 2, v3
	v_cmp_lt_i32_e32 vcc, 3, v29
	s_and_saveexec_b64 s[24:25], vcc
	s_cbranch_execz .LBB0_84
; %bb.26:                               ;   in Loop: Header=BB0_7 Depth=1
	v_lshlrev_b64 v[3:4], 2, v[12:13]
	s_mov_b64 s[26:27], 0
	v_add_co_u32_e32 v14, vcc, v1, v3
	v_addc_co_u32_e32 v15, vcc, v2, v4, vcc
	v_add_co_u32_e32 v1, vcc, v12, v25
	v_addc_co_u32_e32 v2, vcc, v13, v26, vcc
	;; [unrolled: 2-line block ×3, first 2 shown]
	v_mov_b32_e32 v3, s52
	v_add_co_u32_e32 v16, vcc, s51, v1
	v_addc_co_u32_e32 v17, vcc, v3, v2, vcc
	v_mov_b32_e32 v31, v30
	s_branch .LBB0_29
.LBB0_27:                               ;   in Loop: Header=BB0_29 Depth=2
	s_or_b64 exec, exec, s[0:1]
.LBB0_28:                               ;   in Loop: Header=BB0_29 Depth=2
	s_or_b64 exec, exec, s[28:29]
	v_lshlrev_b32_e32 v1, 24, v19
	v_lshlrev_b32_e32 v2, 16, v18
	v_lshl_or_b32 v3, v32, 8, v20
	v_or3_b32 v1, v3, v2, v1
	global_store_dword v[16:17], v1, off
	v_add_co_u32_e32 v16, vcc, 4, v16
	v_add_u32_e32 v31, -1, v31
	v_addc_co_u32_e32 v17, vcc, 0, v17, vcc
	v_cmp_eq_u32_e32 vcc, 0, v31
	s_or_b64 s[26:27], vcc, s[26:27]
	v_add_co_u32_e32 v14, vcc, 16, v14
	v_addc_co_u32_e32 v15, vcc, 0, v15, vcc
	s_andn2_b64 exec, exec, s[26:27]
	s_cbranch_execz .LBB0_84
.LBB0_29:                               ;   Parent Loop BB0_7 Depth=1
                                        ; =>  This Inner Loop Header: Depth=2
	global_load_dwordx4 v[1:4], v[14:15], off
	s_waitcnt vmcnt(0)
	v_div_scale_f32 v5, s[0:1], s14, s14, v1
	v_div_scale_f32 v18, vcc, v1, s14, v1
	v_rcp_f32_e32 v19, v5
	v_fma_f32 v20, -v5, v19, 1.0
	v_fmac_f32_e32 v19, v20, v19
	v_mul_f32_e32 v20, v18, v19
	v_fma_f32 v32, -v5, v20, v18
	v_fmac_f32_e32 v20, v32, v19
	v_fma_f32 v5, -v5, v20, v18
	v_div_fmas_f32 v5, v5, v19, v20
	v_mov_b32_e32 v32, 0x80
	v_mov_b32_e32 v20, 0x80
	v_div_fixup_f32 v1, v5, s14, v1
	v_and_b32_e32 v5, 0x7f800000, v1
	v_cmp_ne_u64_e32 vcc, s[16:17], v[5:6]
	s_and_saveexec_b64 s[28:29], vcc
	s_cbranch_execz .LBB0_43
; %bb.30:                               ;   in Loop: Header=BB0_29 Depth=2
	v_and_b32_e32 v5, 0x7fffffff, v1
	v_cmp_gt_u64_e32 vcc, s[18:19], v[5:6]
                                        ; implicit-def: $vgpr20
	s_and_saveexec_b64 s[0:1], vcc
	s_xor_b64 s[30:31], exec, s[0:1]
	s_cbranch_execz .LBB0_40
; %bb.31:                               ;   in Loop: Header=BB0_29 Depth=2
	v_mov_b32_e32 v20, 0
	v_cmp_ne_u32_e32 vcc, 0, v1
	s_and_saveexec_b64 s[34:35], vcc
	s_cbranch_execz .LBB0_39
; %bb.32:                               ;   in Loop: Header=BB0_29 Depth=2
	v_bfe_u32 v33, v1, 23, 8
	v_sub_u32_e32 v18, 0x78, v33
	v_cmp_gt_u32_e32 vcc, s55, v33
	v_cndmask_b32_e32 v18, 0, v18, vcc
	v_cmp_eq_u32_e32 vcc, 0, v33
	v_cndmask_b32_e32 v34, v18, v23, vcc
	v_and_b32_e32 v5, 0x7fffff, v1
	v_add_u32_e32 v18, 20, v34
	v_or_b32_e32 v20, 0x800000, v5
	v_lshlrev_b64 v[18:19], v18, -1
	v_cndmask_b32_e32 v5, v20, v5, vcc
	v_bfi_b32 v35, v18, 0, v5
	v_add_u32_e32 v18, 19, v34
	v_bfi_b32 v36, v19, 0, 0
	v_lshlrev_b64 v[37:38], v18, 1
	v_lshrrev_b64 v[18:19], v34, v[5:6]
	v_cmp_eq_u64_e64 s[0:1], v[35:36], v[37:38]
	v_mov_b32_e32 v20, v19
	v_mov_b32_e32 v19, v18
	s_and_saveexec_b64 s[36:37], s[0:1]
; %bb.33:                               ;   in Loop: Header=BB0_29 Depth=2
	v_bfe_u32 v5, v18, 20, 1
	v_add_co_u32_e64 v5, s[0:1], v18, v5
	v_add_co_u32_e64 v19, s[0:1], -1, v5
; %bb.34:                               ;   in Loop: Header=BB0_29 Depth=2
	s_or_b64 exec, exec, s[36:37]
	v_add_u32_e32 v5, 0xffffff81, v33
	v_cndmask_b32_e32 v5, v5, v24, vcc
	v_lshrrev_b32_e32 v20, 23, v18
	v_add3_u32 v34, v34, v5, v20
	v_add_u32_e32 v33, 7, v34
	v_and_b32_e32 v5, 0xfffff, v19
	v_add_u32_e32 v5, v5, v18
	v_cmp_ne_u32_e32 vcc, 0, v33
                                        ; implicit-def: $vgpr18_vgpr19
                                        ; implicit-def: $vgpr20
	s_and_saveexec_b64 s[0:1], vcc
	s_xor_b64 s[0:1], exec, s[0:1]
; %bb.35:                               ;   in Loop: Header=BB0_29 Depth=2
	v_cmp_lt_u64_e32 vcc, s[20:21], v[5:6]
	v_add_u32_e32 v18, 8, v34
	v_cndmask_b32_e32 v20, v33, v18, vcc
	v_cndmask_b32_e64 v18, 0, 1, vcc
	v_lshrrev_b64 v[18:19], v18, v[5:6]
; %bb.36:                               ;   in Loop: Header=BB0_29 Depth=2
	s_andn2_saveexec_b64 s[0:1], s[0:1]
; %bb.37:                               ;   in Loop: Header=BB0_29 Depth=2
	v_mov_b32_e32 v19, v6
	v_bfe_u32 v20, v5, 23, 1
	v_mov_b32_e32 v18, v5
; %bb.38:                               ;   in Loop: Header=BB0_29 Depth=2
	s_or_b64 exec, exec, s[0:1]
	v_lshrrev_b64 v[18:19], 20, v[18:19]
	v_cmp_gt_i32_e32 vcc, 16, v20
	v_min_i32_e32 v5, 15, v20
	v_cndmask_b32_e32 v19, 0, v19, vcc
	v_cndmask_b32_e32 v18, 7, v18, vcc
	v_cmp_eq_u64_e64 s[0:1], 0, v[18:19]
	v_lshlrev_b32_e32 v5, 3, v5
	v_and_b32_sdwa v1, v1, s56 dst_sel:DWORD dst_unused:UNUSED_PAD src0_sel:BYTE_3 src1_sel:DWORD
	v_cmp_eq_u32_e32 vcc, 0, v20
	v_and_b32_e32 v18, 7, v18
	v_and_b32_e32 v5, 0xf8, v5
	v_or3_b32 v1, v5, v1, v18
	s_and_b64 s[0:1], vcc, s[0:1]
	v_cndmask_b32_e64 v20, v1, 0, s[0:1]
.LBB0_39:                               ;   in Loop: Header=BB0_29 Depth=2
	s_or_b64 exec, exec, s[34:35]
                                        ; implicit-def: $vgpr1
.LBB0_40:                               ;   in Loop: Header=BB0_29 Depth=2
	s_andn2_saveexec_b64 s[0:1], s[30:31]
; %bb.41:                               ;   in Loop: Header=BB0_29 Depth=2
	v_or_b32_sdwa v20, v1, s57 dst_sel:DWORD dst_unused:UNUSED_PAD src0_sel:BYTE_3 src1_sel:DWORD
; %bb.42:                               ;   in Loop: Header=BB0_29 Depth=2
	s_or_b64 exec, exec, s[0:1]
.LBB0_43:                               ;   in Loop: Header=BB0_29 Depth=2
	s_or_b64 exec, exec, s[28:29]
	v_div_scale_f32 v1, s[0:1], s14, s14, v2
	v_div_scale_f32 v5, vcc, v2, s14, v2
	v_rcp_f32_e32 v18, v1
	v_fma_f32 v19, -v1, v18, 1.0
	v_fmac_f32_e32 v18, v19, v18
	v_mul_f32_e32 v19, v5, v18
	v_fma_f32 v33, -v1, v19, v5
	v_fmac_f32_e32 v19, v33, v18
	v_fma_f32 v1, -v1, v19, v5
	v_div_fmas_f32 v1, v1, v18, v19
	v_div_fixup_f32 v33, v1, s14, v2
	v_and_b32_e32 v5, 0x7f800000, v33
	v_cmp_ne_u64_e32 vcc, s[16:17], v[5:6]
	s_and_saveexec_b64 s[28:29], vcc
	s_cbranch_execz .LBB0_57
; %bb.44:                               ;   in Loop: Header=BB0_29 Depth=2
	v_and_b32_e32 v5, 0x7fffffff, v33
	v_cmp_gt_u64_e32 vcc, s[18:19], v[5:6]
                                        ; implicit-def: $vgpr32
	s_and_saveexec_b64 s[0:1], vcc
	s_xor_b64 s[30:31], exec, s[0:1]
	s_cbranch_execz .LBB0_54
; %bb.45:                               ;   in Loop: Header=BB0_29 Depth=2
	v_mov_b32_e32 v32, 0
	v_cmp_ne_u32_e32 vcc, 0, v33
	s_and_saveexec_b64 s[34:35], vcc
	s_cbranch_execz .LBB0_53
; %bb.46:                               ;   in Loop: Header=BB0_29 Depth=2
	v_bfe_u32 v32, v33, 23, 8
	v_sub_u32_e32 v1, 0x78, v32
	v_cmp_gt_u32_e32 vcc, s55, v32
	v_cndmask_b32_e32 v1, 0, v1, vcc
	v_cmp_eq_u32_e32 vcc, 0, v32
	v_cndmask_b32_e32 v34, v1, v23, vcc
	v_and_b32_e32 v5, 0x7fffff, v33
	v_add_u32_e32 v1, 20, v34
	v_or_b32_e32 v18, 0x800000, v5
	v_lshlrev_b64 v[1:2], v1, -1
	v_cndmask_b32_e32 v5, v18, v5, vcc
	v_bfi_b32 v18, v1, 0, v5
	v_add_u32_e32 v1, 19, v34
	v_bfi_b32 v19, v2, 0, 0
	v_lshlrev_b64 v[35:36], v1, 1
	v_lshrrev_b64 v[1:2], v34, v[5:6]
	v_cmp_eq_u64_e64 s[0:1], v[18:19], v[35:36]
	v_mov_b32_e32 v19, v2
	v_mov_b32_e32 v18, v1
	s_and_saveexec_b64 s[36:37], s[0:1]
; %bb.47:                               ;   in Loop: Header=BB0_29 Depth=2
	v_bfe_u32 v2, v1, 20, 1
	v_add_co_u32_e64 v2, s[0:1], v1, v2
	v_add_co_u32_e64 v18, s[0:1], -1, v2
; %bb.48:                               ;   in Loop: Header=BB0_29 Depth=2
	s_or_b64 exec, exec, s[36:37]
	v_add_u32_e32 v2, 0xffffff81, v32
	v_cndmask_b32_e32 v2, v2, v24, vcc
	v_lshrrev_b32_e32 v5, 23, v1
	v_add3_u32 v32, v34, v2, v5
	v_add_u32_e32 v19, 7, v32
	v_and_b32_e32 v2, 0xfffff, v18
	v_add_u32_e32 v5, v2, v1
	v_cmp_ne_u32_e32 vcc, 0, v19
                                        ; implicit-def: $vgpr1_vgpr2
                                        ; implicit-def: $vgpr18
	s_and_saveexec_b64 s[0:1], vcc
	s_xor_b64 s[0:1], exec, s[0:1]
; %bb.49:                               ;   in Loop: Header=BB0_29 Depth=2
	v_cmp_lt_u64_e32 vcc, s[20:21], v[5:6]
	v_add_u32_e32 v1, 8, v32
	v_cndmask_b32_e32 v18, v19, v1, vcc
	v_cndmask_b32_e64 v1, 0, 1, vcc
	v_lshrrev_b64 v[1:2], v1, v[5:6]
; %bb.50:                               ;   in Loop: Header=BB0_29 Depth=2
	s_andn2_saveexec_b64 s[0:1], s[0:1]
; %bb.51:                               ;   in Loop: Header=BB0_29 Depth=2
	v_mov_b32_e32 v1, v5
	v_bfe_u32 v18, v5, 23, 1
	v_mov_b32_e32 v2, v6
; %bb.52:                               ;   in Loop: Header=BB0_29 Depth=2
	s_or_b64 exec, exec, s[0:1]
	v_lshrrev_b64 v[1:2], 20, v[1:2]
	v_cmp_gt_i32_e32 vcc, 16, v18
	v_min_i32_e32 v19, 15, v18
	v_cndmask_b32_e32 v2, 0, v2, vcc
	v_cndmask_b32_e32 v1, 7, v1, vcc
	v_cmp_eq_u64_e64 s[0:1], 0, v[1:2]
	v_lshlrev_b32_e32 v2, 3, v19
	v_and_b32_sdwa v5, v33, s56 dst_sel:DWORD dst_unused:UNUSED_PAD src0_sel:BYTE_3 src1_sel:DWORD
	v_cmp_eq_u32_e32 vcc, 0, v18
	v_and_b32_e32 v1, 7, v1
	v_and_b32_e32 v2, 0xf8, v2
	v_or3_b32 v1, v2, v5, v1
	s_and_b64 s[0:1], vcc, s[0:1]
	v_cndmask_b32_e64 v32, v1, 0, s[0:1]
.LBB0_53:                               ;   in Loop: Header=BB0_29 Depth=2
	s_or_b64 exec, exec, s[34:35]
                                        ; implicit-def: $vgpr33
.LBB0_54:                               ;   in Loop: Header=BB0_29 Depth=2
	s_andn2_saveexec_b64 s[0:1], s[30:31]
; %bb.55:                               ;   in Loop: Header=BB0_29 Depth=2
	v_or_b32_sdwa v32, v33, s57 dst_sel:DWORD dst_unused:UNUSED_PAD src0_sel:BYTE_3 src1_sel:DWORD
; %bb.56:                               ;   in Loop: Header=BB0_29 Depth=2
	s_or_b64 exec, exec, s[0:1]
.LBB0_57:                               ;   in Loop: Header=BB0_29 Depth=2
	s_or_b64 exec, exec, s[28:29]
	v_div_scale_f32 v1, s[0:1], s14, s14, v3
	v_div_scale_f32 v2, vcc, v3, s14, v3
	v_rcp_f32_e32 v5, v1
	v_fma_f32 v18, -v1, v5, 1.0
	v_fmac_f32_e32 v5, v18, v5
	v_mul_f32_e32 v18, v2, v5
	v_fma_f32 v19, -v1, v18, v2
	v_fmac_f32_e32 v18, v19, v5
	v_fma_f32 v1, -v1, v18, v2
	v_div_fmas_f32 v1, v1, v5, v18
	v_mov_b32_e32 v19, 0x80
	v_mov_b32_e32 v18, 0x80
	v_div_fixup_f32 v33, v1, s14, v3
	v_and_b32_e32 v5, 0x7f800000, v33
	v_cmp_ne_u64_e32 vcc, s[16:17], v[5:6]
	s_and_saveexec_b64 s[28:29], vcc
	s_cbranch_execz .LBB0_71
; %bb.58:                               ;   in Loop: Header=BB0_29 Depth=2
	v_and_b32_e32 v5, 0x7fffffff, v33
	v_cmp_gt_u64_e32 vcc, s[18:19], v[5:6]
                                        ; implicit-def: $vgpr18
	s_and_saveexec_b64 s[0:1], vcc
	s_xor_b64 s[30:31], exec, s[0:1]
	s_cbranch_execz .LBB0_68
; %bb.59:                               ;   in Loop: Header=BB0_29 Depth=2
	v_mov_b32_e32 v18, 0
	v_cmp_ne_u32_e32 vcc, 0, v33
	s_and_saveexec_b64 s[34:35], vcc
	s_cbranch_execz .LBB0_67
; %bb.60:                               ;   in Loop: Header=BB0_29 Depth=2
	v_bfe_u32 v18, v33, 23, 8
	v_sub_u32_e32 v1, 0x78, v18
	v_cmp_gt_u32_e32 vcc, s55, v18
	v_cndmask_b32_e32 v1, 0, v1, vcc
	v_cmp_eq_u32_e32 vcc, 0, v18
	v_cndmask_b32_e32 v34, v1, v23, vcc
	v_and_b32_e32 v3, 0x7fffff, v33
	v_add_u32_e32 v1, 20, v34
	v_or_b32_e32 v5, 0x800000, v3
	v_lshlrev_b64 v[1:2], v1, -1
	v_cndmask_b32_e32 v5, v5, v3, vcc
	v_bfi_b32 v35, v1, 0, v5
	v_add_u32_e32 v1, 19, v34
	v_bfi_b32 v36, v2, 0, 0
	v_lshlrev_b64 v[37:38], v1, 1
	v_lshrrev_b64 v[1:2], v34, v[5:6]
	v_cmp_eq_u64_e64 s[0:1], v[35:36], v[37:38]
	v_mov_b32_e32 v3, v2
	v_mov_b32_e32 v2, v1
	s_and_saveexec_b64 s[36:37], s[0:1]
; %bb.61:                               ;   in Loop: Header=BB0_29 Depth=2
	v_bfe_u32 v2, v1, 20, 1
	v_add_co_u32_e64 v2, s[0:1], v1, v2
	v_add_co_u32_e64 v2, s[0:1], -1, v2
; %bb.62:                               ;   in Loop: Header=BB0_29 Depth=2
	s_or_b64 exec, exec, s[36:37]
	v_add_u32_e32 v3, 0xffffff81, v18
	v_cndmask_b32_e32 v3, v3, v24, vcc
	v_lshrrev_b32_e32 v5, 23, v1
	v_add3_u32 v34, v34, v3, v5
	v_add_u32_e32 v18, 7, v34
	v_and_b32_e32 v2, 0xfffff, v2
	v_add_u32_e32 v5, v2, v1
	v_cmp_ne_u32_e32 vcc, 0, v18
                                        ; implicit-def: $vgpr1_vgpr2
                                        ; implicit-def: $vgpr3
	s_and_saveexec_b64 s[0:1], vcc
	s_xor_b64 s[0:1], exec, s[0:1]
; %bb.63:                               ;   in Loop: Header=BB0_29 Depth=2
	v_cmp_lt_u64_e32 vcc, s[20:21], v[5:6]
	v_add_u32_e32 v1, 8, v34
	v_cndmask_b32_e32 v3, v18, v1, vcc
	v_cndmask_b32_e64 v1, 0, 1, vcc
	v_lshrrev_b64 v[1:2], v1, v[5:6]
; %bb.64:                               ;   in Loop: Header=BB0_29 Depth=2
	s_andn2_saveexec_b64 s[0:1], s[0:1]
; %bb.65:                               ;   in Loop: Header=BB0_29 Depth=2
	v_mov_b32_e32 v1, v5
	v_bfe_u32 v3, v5, 23, 1
	v_mov_b32_e32 v2, v6
; %bb.66:                               ;   in Loop: Header=BB0_29 Depth=2
	s_or_b64 exec, exec, s[0:1]
	v_lshrrev_b64 v[1:2], 20, v[1:2]
	v_cmp_gt_i32_e32 vcc, 16, v3
	v_min_i32_e32 v18, 15, v3
	v_cndmask_b32_e32 v2, 0, v2, vcc
	v_cndmask_b32_e32 v1, 7, v1, vcc
	v_cmp_eq_u64_e64 s[0:1], 0, v[1:2]
	v_lshlrev_b32_e32 v2, 3, v18
	v_and_b32_sdwa v5, v33, s56 dst_sel:DWORD dst_unused:UNUSED_PAD src0_sel:BYTE_3 src1_sel:DWORD
	v_cmp_eq_u32_e32 vcc, 0, v3
	v_and_b32_e32 v1, 7, v1
	v_and_b32_e32 v2, 0xf8, v2
	v_or3_b32 v1, v2, v5, v1
	s_and_b64 s[0:1], vcc, s[0:1]
	v_cndmask_b32_e64 v18, v1, 0, s[0:1]
.LBB0_67:                               ;   in Loop: Header=BB0_29 Depth=2
	s_or_b64 exec, exec, s[34:35]
                                        ; implicit-def: $vgpr33
.LBB0_68:                               ;   in Loop: Header=BB0_29 Depth=2
	s_andn2_saveexec_b64 s[0:1], s[30:31]
; %bb.69:                               ;   in Loop: Header=BB0_29 Depth=2
	v_or_b32_sdwa v18, v33, s57 dst_sel:DWORD dst_unused:UNUSED_PAD src0_sel:BYTE_3 src1_sel:DWORD
; %bb.70:                               ;   in Loop: Header=BB0_29 Depth=2
	s_or_b64 exec, exec, s[0:1]
.LBB0_71:                               ;   in Loop: Header=BB0_29 Depth=2
	s_or_b64 exec, exec, s[28:29]
	v_div_scale_f32 v1, s[0:1], s14, s14, v4
	v_div_scale_f32 v2, vcc, v4, s14, v4
	v_rcp_f32_e32 v3, v1
	v_fma_f32 v5, -v1, v3, 1.0
	v_fmac_f32_e32 v3, v5, v3
	v_mul_f32_e32 v5, v2, v3
	v_fma_f32 v33, -v1, v5, v2
	v_fmac_f32_e32 v5, v33, v3
	v_fma_f32 v1, -v1, v5, v2
	v_div_fmas_f32 v1, v1, v3, v5
	v_div_fixup_f32 v4, v1, s14, v4
	v_and_b32_e32 v5, 0x7f800000, v4
	v_cmp_ne_u64_e32 vcc, s[16:17], v[5:6]
	s_and_saveexec_b64 s[28:29], vcc
	s_cbranch_execz .LBB0_28
; %bb.72:                               ;   in Loop: Header=BB0_29 Depth=2
	v_and_b32_e32 v5, 0x7fffffff, v4
	v_cmp_gt_u64_e32 vcc, s[18:19], v[5:6]
                                        ; implicit-def: $vgpr19
	s_and_saveexec_b64 s[0:1], vcc
	s_xor_b64 s[30:31], exec, s[0:1]
	s_cbranch_execz .LBB0_82
; %bb.73:                               ;   in Loop: Header=BB0_29 Depth=2
	v_mov_b32_e32 v19, 0
	v_cmp_ne_u32_e32 vcc, 0, v4
	s_and_saveexec_b64 s[34:35], vcc
	s_cbranch_execz .LBB0_81
; %bb.74:                               ;   in Loop: Header=BB0_29 Depth=2
	v_bfe_u32 v19, v4, 23, 8
	v_sub_u32_e32 v1, 0x78, v19
	v_cmp_gt_u32_e32 vcc, s55, v19
	v_cndmask_b32_e32 v1, 0, v1, vcc
	v_cmp_eq_u32_e32 vcc, 0, v19
	v_cndmask_b32_e32 v33, v1, v23, vcc
	v_and_b32_e32 v3, 0x7fffff, v4
	v_add_u32_e32 v1, 20, v33
	v_or_b32_e32 v5, 0x800000, v3
	v_lshlrev_b64 v[1:2], v1, -1
	v_cndmask_b32_e32 v5, v5, v3, vcc
	v_bfi_b32 v34, v1, 0, v5
	v_add_u32_e32 v1, 19, v33
	v_bfi_b32 v35, v2, 0, 0
	v_lshlrev_b64 v[36:37], v1, 1
	v_lshrrev_b64 v[1:2], v33, v[5:6]
	v_cmp_eq_u64_e64 s[0:1], v[34:35], v[36:37]
	v_mov_b32_e32 v3, v2
	v_mov_b32_e32 v2, v1
	s_and_saveexec_b64 s[36:37], s[0:1]
; %bb.75:                               ;   in Loop: Header=BB0_29 Depth=2
	v_bfe_u32 v2, v1, 20, 1
	v_add_co_u32_e64 v2, s[0:1], v1, v2
	v_add_co_u32_e64 v2, s[0:1], -1, v2
; %bb.76:                               ;   in Loop: Header=BB0_29 Depth=2
	s_or_b64 exec, exec, s[36:37]
	v_add_u32_e32 v3, 0xffffff81, v19
	v_cndmask_b32_e32 v3, v3, v24, vcc
	v_lshrrev_b32_e32 v5, 23, v1
	v_add3_u32 v33, v33, v3, v5
	v_add_u32_e32 v19, 7, v33
	v_and_b32_e32 v2, 0xfffff, v2
	v_add_u32_e32 v5, v2, v1
	v_cmp_ne_u32_e32 vcc, 0, v19
                                        ; implicit-def: $vgpr1_vgpr2
                                        ; implicit-def: $vgpr3
	s_and_saveexec_b64 s[0:1], vcc
	s_xor_b64 s[0:1], exec, s[0:1]
; %bb.77:                               ;   in Loop: Header=BB0_29 Depth=2
	v_cmp_lt_u64_e32 vcc, s[20:21], v[5:6]
	v_add_u32_e32 v1, 8, v33
	v_cndmask_b32_e32 v3, v19, v1, vcc
	v_cndmask_b32_e64 v1, 0, 1, vcc
	v_lshrrev_b64 v[1:2], v1, v[5:6]
; %bb.78:                               ;   in Loop: Header=BB0_29 Depth=2
	s_andn2_saveexec_b64 s[0:1], s[0:1]
; %bb.79:                               ;   in Loop: Header=BB0_29 Depth=2
	v_mov_b32_e32 v1, v5
	v_bfe_u32 v3, v5, 23, 1
	v_mov_b32_e32 v2, v6
; %bb.80:                               ;   in Loop: Header=BB0_29 Depth=2
	s_or_b64 exec, exec, s[0:1]
	v_lshrrev_b64 v[1:2], 20, v[1:2]
	v_cmp_gt_i32_e32 vcc, 16, v3
	v_min_i32_e32 v5, 15, v3
	v_cndmask_b32_e32 v2, 0, v2, vcc
	v_cndmask_b32_e32 v1, 7, v1, vcc
	v_cmp_eq_u64_e64 s[0:1], 0, v[1:2]
	v_lshlrev_b32_e32 v2, 3, v5
	v_and_b32_sdwa v4, v4, s56 dst_sel:DWORD dst_unused:UNUSED_PAD src0_sel:BYTE_3 src1_sel:DWORD
	v_cmp_eq_u32_e32 vcc, 0, v3
	v_and_b32_e32 v1, 7, v1
	v_and_b32_e32 v2, 0xf8, v2
	v_or3_b32 v1, v2, v4, v1
	s_and_b64 s[0:1], vcc, s[0:1]
	v_cndmask_b32_e64 v19, v1, 0, s[0:1]
.LBB0_81:                               ;   in Loop: Header=BB0_29 Depth=2
	s_or_b64 exec, exec, s[34:35]
                                        ; implicit-def: $vgpr4
.LBB0_82:                               ;   in Loop: Header=BB0_29 Depth=2
	s_andn2_saveexec_b64 s[0:1], s[30:31]
	s_cbranch_execz .LBB0_27
; %bb.83:                               ;   in Loop: Header=BB0_29 Depth=2
	v_or_b32_sdwa v19, v4, s57 dst_sel:DWORD dst_unused:UNUSED_PAD src0_sel:BYTE_3 src1_sel:DWORD
	s_branch .LBB0_27
.LBB0_84:                               ;   in Loop: Header=BB0_7 Depth=1
	s_or_b64 exec, exec, s[24:25]
	v_lshlrev_b32_e32 v1, 2, v30
	v_cmp_lt_i32_e32 vcc, v1, v29
	s_and_saveexec_b64 s[24:25], vcc
	s_cbranch_execz .LBB0_101
; %bb.85:                               ;   in Loop: Header=BB0_7 Depth=1
	v_lshlrev_b64 v[2:3], 2, v[12:13]
	s_mov_b64 s[26:27], 0
	v_add_co_u32_e32 v2, vcc, v2, v9
	v_addc_co_u32_e32 v3, vcc, v3, v10, vcc
	v_add_co_u32_e32 v5, vcc, v2, v7
	v_ashrrev_i32_e32 v2, 31, v1
	v_addc_co_u32_e32 v14, vcc, v3, v8, vcc
	v_lshlrev_b64 v[3:4], 2, v[1:2]
	v_add_co_u32_e32 v3, vcc, v5, v3
	v_addc_co_u32_e32 v4, vcc, v14, v4, vcc
	v_mov_b32_e32 v5, s42
	v_add_co_u32_e32 v3, vcc, s41, v3
	v_addc_co_u32_e32 v4, vcc, v5, v4, vcc
	v_add_co_u32_e32 v5, vcc, v12, v25
	v_addc_co_u32_e32 v12, vcc, v13, v26, vcc
	;; [unrolled: 2-line block ×4, first 2 shown]
	v_mov_b32_e32 v13, s52
	v_add_co_u32_e32 v12, vcc, s51, v5
	v_addc_co_u32_e32 v13, vcc, v13, v2, vcc
	s_branch .LBB0_88
.LBB0_86:                               ;   in Loop: Header=BB0_88 Depth=2
	s_or_b64 exec, exec, s[0:1]
.LBB0_87:                               ;   in Loop: Header=BB0_88 Depth=2
	s_or_b64 exec, exec, s[28:29]
	v_add_co_u32_e32 v3, vcc, 4, v3
	v_add_u32_e32 v1, 1, v1
	v_addc_co_u32_e32 v4, vcc, 0, v4, vcc
	v_cmp_ge_i32_e32 vcc, v1, v29
	global_store_byte v[12:13], v5, off
	s_or_b64 s[26:27], vcc, s[26:27]
	v_add_co_u32_e32 v12, vcc, 1, v12
	v_addc_co_u32_e32 v13, vcc, 0, v13, vcc
	s_andn2_b64 exec, exec, s[26:27]
	s_cbranch_execz .LBB0_101
.LBB0_88:                               ;   Parent Loop BB0_7 Depth=1
                                        ; =>  This Inner Loop Header: Depth=2
	global_load_dword v2, v[3:4], off
	s_waitcnt vmcnt(0)
	v_div_scale_f32 v5, s[0:1], s14, s14, v2
	v_div_scale_f32 v14, vcc, v2, s14, v2
	v_rcp_f32_e32 v15, v5
	v_fma_f32 v16, -v5, v15, 1.0
	v_fmac_f32_e32 v15, v16, v15
	v_mul_f32_e32 v16, v14, v15
	v_fma_f32 v17, -v5, v16, v14
	v_fmac_f32_e32 v16, v17, v15
	v_fma_f32 v5, -v5, v16, v14
	v_div_fmas_f32 v5, v5, v15, v16
	v_div_fixup_f32 v2, v5, s14, v2
	v_and_b32_e32 v5, 0x7f800000, v2
	v_cmp_ne_u64_e32 vcc, s[16:17], v[5:6]
	v_mov_b32_e32 v5, 0x80
	s_and_saveexec_b64 s[28:29], vcc
	s_cbranch_execz .LBB0_87
; %bb.89:                               ;   in Loop: Header=BB0_88 Depth=2
	v_and_b32_e32 v5, 0x7fffffff, v2
	v_cmp_gt_u64_e32 vcc, s[18:19], v[5:6]
                                        ; implicit-def: $vgpr5
	s_and_saveexec_b64 s[0:1], vcc
	s_xor_b64 s[30:31], exec, s[0:1]
	s_cbranch_execz .LBB0_99
; %bb.90:                               ;   in Loop: Header=BB0_88 Depth=2
	v_cmp_ne_u32_e32 vcc, 0, v2
	v_mov_b32_e32 v5, 0
	s_and_saveexec_b64 s[34:35], vcc
	s_cbranch_execz .LBB0_98
; %bb.91:                               ;   in Loop: Header=BB0_88 Depth=2
	v_bfe_u32 v17, v2, 23, 8
	v_sub_u32_e32 v14, 0x78, v17
	v_cmp_gt_u32_e32 vcc, s55, v17
	v_cndmask_b32_e32 v14, 0, v14, vcc
	v_cmp_eq_u32_e32 vcc, 0, v17
	v_cndmask_b32_e32 v18, v14, v23, vcc
	v_and_b32_e32 v5, 0x7fffff, v2
	v_add_u32_e32 v14, 20, v18
	v_or_b32_e32 v16, 0x800000, v5
	v_lshlrev_b64 v[14:15], v14, -1
	v_cndmask_b32_e32 v5, v16, v5, vcc
	v_bfi_b32 v19, v14, 0, v5
	v_add_u32_e32 v14, 19, v18
	v_bfi_b32 v20, v15, 0, 0
	v_lshlrev_b64 v[27:28], v14, 1
	v_lshrrev_b64 v[14:15], v18, v[5:6]
	v_cmp_eq_u64_e64 s[0:1], v[19:20], v[27:28]
	v_mov_b32_e32 v16, v15
	v_mov_b32_e32 v15, v14
	s_and_saveexec_b64 s[36:37], s[0:1]
; %bb.92:                               ;   in Loop: Header=BB0_88 Depth=2
	v_bfe_u32 v5, v14, 20, 1
	v_add_co_u32_e64 v5, s[0:1], v14, v5
	v_add_co_u32_e64 v15, s[0:1], -1, v5
; %bb.93:                               ;   in Loop: Header=BB0_88 Depth=2
	s_or_b64 exec, exec, s[36:37]
	v_add_u32_e32 v5, 0xffffff81, v17
	v_cndmask_b32_e32 v5, v5, v24, vcc
	v_lshrrev_b32_e32 v16, 23, v14
	v_add3_u32 v18, v18, v5, v16
	v_add_u32_e32 v17, 7, v18
	v_and_b32_e32 v5, 0xfffff, v15
	v_add_u32_e32 v5, v5, v14
	v_cmp_ne_u32_e32 vcc, 0, v17
                                        ; implicit-def: $vgpr14_vgpr15
                                        ; implicit-def: $vgpr16
	s_and_saveexec_b64 s[0:1], vcc
	s_xor_b64 s[0:1], exec, s[0:1]
; %bb.94:                               ;   in Loop: Header=BB0_88 Depth=2
	v_cmp_lt_u64_e32 vcc, s[20:21], v[5:6]
	v_add_u32_e32 v14, 8, v18
	v_cndmask_b32_e32 v16, v17, v14, vcc
	v_cndmask_b32_e64 v14, 0, 1, vcc
	v_lshrrev_b64 v[14:15], v14, v[5:6]
; %bb.95:                               ;   in Loop: Header=BB0_88 Depth=2
	s_andn2_saveexec_b64 s[0:1], s[0:1]
; %bb.96:                               ;   in Loop: Header=BB0_88 Depth=2
	v_mov_b32_e32 v15, v6
	v_bfe_u32 v16, v5, 23, 1
	v_mov_b32_e32 v14, v5
; %bb.97:                               ;   in Loop: Header=BB0_88 Depth=2
	s_or_b64 exec, exec, s[0:1]
	v_lshrrev_b64 v[14:15], 20, v[14:15]
	v_cmp_gt_i32_e32 vcc, 16, v16
	v_cndmask_b32_e32 v15, 0, v15, vcc
	v_cndmask_b32_e32 v14, 7, v14, vcc
	v_and_b32_sdwa v2, v2, s56 dst_sel:DWORD dst_unused:UNUSED_PAD src0_sel:BYTE_3 src1_sel:DWORD
	v_min_i32_e32 v5, 15, v16
	v_cmp_eq_u64_e64 s[0:1], 0, v[14:15]
	v_cmp_eq_u32_e32 vcc, 0, v16
	v_lshl_or_b32 v2, v5, 3, v2
	v_and_or_b32 v2, v14, 7, v2
	s_and_b64 s[0:1], vcc, s[0:1]
	v_cndmask_b32_e64 v5, v2, 0, s[0:1]
.LBB0_98:                               ;   in Loop: Header=BB0_88 Depth=2
	s_or_b64 exec, exec, s[34:35]
                                        ; implicit-def: $vgpr2
.LBB0_99:                               ;   in Loop: Header=BB0_88 Depth=2
	s_andn2_saveexec_b64 s[0:1], s[30:31]
	s_cbranch_execz .LBB0_86
; %bb.100:                              ;   in Loop: Header=BB0_88 Depth=2
	v_or_b32_sdwa v5, v2, s57 dst_sel:DWORD dst_unused:UNUSED_PAD src0_sel:BYTE_3 src1_sel:DWORD
	s_branch .LBB0_86
.LBB0_101:                              ;   in Loop: Header=BB0_7 Depth=1
	s_or_b64 exec, exec, s[24:25]
                                        ; implicit-def: $vgpr27
                                        ; implicit-def: $vgpr28
.LBB0_102:                              ;   in Loop: Header=BB0_7 Depth=1
	s_andn2_saveexec_b64 s[22:23], s[22:23]
	s_cbranch_execz .LBB0_162
; %bb.103:                              ;   in Loop: Header=BB0_7 Depth=1
	s_andn2_b64 vcc, exec, s[2:3]
	s_cbranch_vccnz .LBB0_162
; %bb.104:                              ;   in Loop: Header=BB0_7 Depth=1
	v_add_co_u32_e32 v1, vcc, v25, v27
	v_addc_co_u32_e32 v2, vcc, v26, v28, vcc
	v_mov_b32_e32 v3, s52
	v_add_co_u32_e32 v12, vcc, s51, v1
	v_addc_co_u32_e32 v13, vcc, v3, v2, vcc
	v_add_co_u32_e32 v1, vcc, v9, v7
	v_addc_co_u32_e32 v2, vcc, v10, v8, vcc
	v_mov_b32_e32 v3, s54
	v_add_co_u32_e32 v14, vcc, s53, v1
	v_addc_co_u32_e32 v15, vcc, v3, v2, vcc
	s_mov_b32 s34, s10
	s_branch .LBB0_107
.LBB0_105:                              ;   in Loop: Header=BB0_107 Depth=2
	s_or_b64 exec, exec, s[0:1]
.LBB0_106:                              ;   in Loop: Header=BB0_107 Depth=2
	s_or_b64 exec, exec, s[24:25]
	v_lshlrev_b32_e32 v1, 24, v17
	v_lshlrev_b32_e32 v2, 16, v16
	v_lshl_or_b32 v3, v19, 8, v18
	v_or3_b32 v1, v3, v2, v1
	global_store_dword v[12:13], v1, off
	v_add_co_u32_e32 v12, vcc, 4, v12
	v_addc_co_u32_e32 v13, vcc, 0, v13, vcc
	s_add_i32 s34, s34, -1
	v_add_co_u32_e32 v14, vcc, 16, v14
	s_cmp_eq_u32 s34, 0
	v_addc_co_u32_e32 v15, vcc, 0, v15, vcc
	s_cbranch_scc1 .LBB0_162
.LBB0_107:                              ;   Parent Loop BB0_7 Depth=1
                                        ; =>  This Inner Loop Header: Depth=2
	global_load_dwordx4 v[1:4], v[14:15], off offset:-8
	s_waitcnt vmcnt(0)
	v_div_scale_f32 v5, s[0:1], s14, s14, v1
	v_div_scale_f32 v16, vcc, v1, s14, v1
	v_rcp_f32_e32 v17, v5
	v_fma_f32 v18, -v5, v17, 1.0
	v_fmac_f32_e32 v17, v18, v17
	v_mul_f32_e32 v18, v16, v17
	v_fma_f32 v19, -v5, v18, v16
	v_fmac_f32_e32 v18, v19, v17
	v_fma_f32 v5, -v5, v18, v16
	v_div_fmas_f32 v5, v5, v17, v18
	v_mov_b32_e32 v19, 0x80
	v_mov_b32_e32 v18, 0x80
	v_div_fixup_f32 v1, v5, s14, v1
	v_and_b32_e32 v5, 0x7f800000, v1
	v_cmp_ne_u64_e32 vcc, s[16:17], v[5:6]
	s_and_saveexec_b64 s[24:25], vcc
	s_cbranch_execz .LBB0_121
; %bb.108:                              ;   in Loop: Header=BB0_107 Depth=2
	v_and_b32_e32 v5, 0x7fffffff, v1
	v_cmp_gt_u64_e32 vcc, s[18:19], v[5:6]
                                        ; implicit-def: $vgpr18
	s_and_saveexec_b64 s[0:1], vcc
	s_xor_b64 s[26:27], exec, s[0:1]
	s_cbranch_execz .LBB0_118
; %bb.109:                              ;   in Loop: Header=BB0_107 Depth=2
	v_mov_b32_e32 v18, 0
	v_cmp_ne_u32_e32 vcc, 0, v1
	s_and_saveexec_b64 s[28:29], vcc
	s_cbranch_execz .LBB0_117
; %bb.110:                              ;   in Loop: Header=BB0_107 Depth=2
	v_bfe_u32 v20, v1, 23, 8
	v_sub_u32_e32 v16, 0x78, v20
	v_cmp_gt_u32_e32 vcc, s55, v20
	v_cndmask_b32_e32 v16, 0, v16, vcc
	v_cmp_eq_u32_e32 vcc, 0, v20
	v_cndmask_b32_e32 v27, v16, v23, vcc
	v_and_b32_e32 v5, 0x7fffff, v1
	v_add_u32_e32 v16, 20, v27
	v_or_b32_e32 v18, 0x800000, v5
	v_lshlrev_b64 v[16:17], v16, -1
	v_cndmask_b32_e32 v5, v18, v5, vcc
	v_bfi_b32 v28, v16, 0, v5
	v_add_u32_e32 v16, 19, v27
	v_bfi_b32 v29, v17, 0, 0
	v_lshlrev_b64 v[30:31], v16, 1
	v_lshrrev_b64 v[16:17], v27, v[5:6]
	v_cmp_eq_u64_e64 s[0:1], v[28:29], v[30:31]
	v_mov_b32_e32 v18, v17
	v_mov_b32_e32 v17, v16
	s_and_saveexec_b64 s[30:31], s[0:1]
; %bb.111:                              ;   in Loop: Header=BB0_107 Depth=2
	v_bfe_u32 v5, v16, 20, 1
	v_add_co_u32_e64 v5, s[0:1], v16, v5
	v_add_co_u32_e64 v17, s[0:1], -1, v5
; %bb.112:                              ;   in Loop: Header=BB0_107 Depth=2
	s_or_b64 exec, exec, s[30:31]
	v_add_u32_e32 v5, 0xffffff81, v20
	v_cndmask_b32_e32 v5, v5, v24, vcc
	v_lshrrev_b32_e32 v18, 23, v16
	v_add3_u32 v27, v27, v5, v18
	v_add_u32_e32 v20, 7, v27
	v_and_b32_e32 v5, 0xfffff, v17
	v_add_u32_e32 v5, v5, v16
	v_cmp_ne_u32_e32 vcc, 0, v20
                                        ; implicit-def: $vgpr16_vgpr17
                                        ; implicit-def: $vgpr18
	s_and_saveexec_b64 s[0:1], vcc
	s_xor_b64 s[0:1], exec, s[0:1]
; %bb.113:                              ;   in Loop: Header=BB0_107 Depth=2
	v_cmp_lt_u64_e32 vcc, s[20:21], v[5:6]
	v_add_u32_e32 v16, 8, v27
	v_cndmask_b32_e32 v18, v20, v16, vcc
	v_cndmask_b32_e64 v16, 0, 1, vcc
	v_lshrrev_b64 v[16:17], v16, v[5:6]
; %bb.114:                              ;   in Loop: Header=BB0_107 Depth=2
	s_andn2_saveexec_b64 s[0:1], s[0:1]
; %bb.115:                              ;   in Loop: Header=BB0_107 Depth=2
	v_mov_b32_e32 v17, v6
	v_bfe_u32 v18, v5, 23, 1
	v_mov_b32_e32 v16, v5
; %bb.116:                              ;   in Loop: Header=BB0_107 Depth=2
	s_or_b64 exec, exec, s[0:1]
	v_lshrrev_b64 v[16:17], 20, v[16:17]
	v_cmp_gt_i32_e32 vcc, 16, v18
	v_min_i32_e32 v5, 15, v18
	v_cndmask_b32_e32 v17, 0, v17, vcc
	v_cndmask_b32_e32 v16, 7, v16, vcc
	v_cmp_eq_u64_e64 s[0:1], 0, v[16:17]
	v_lshlrev_b32_e32 v5, 3, v5
	v_and_b32_sdwa v1, v1, s56 dst_sel:DWORD dst_unused:UNUSED_PAD src0_sel:BYTE_3 src1_sel:DWORD
	v_cmp_eq_u32_e32 vcc, 0, v18
	v_and_b32_e32 v16, 7, v16
	v_and_b32_e32 v5, 0xf8, v5
	v_or3_b32 v1, v5, v1, v16
	s_and_b64 s[0:1], vcc, s[0:1]
	v_cndmask_b32_e64 v18, v1, 0, s[0:1]
.LBB0_117:                              ;   in Loop: Header=BB0_107 Depth=2
	s_or_b64 exec, exec, s[28:29]
                                        ; implicit-def: $vgpr1
.LBB0_118:                              ;   in Loop: Header=BB0_107 Depth=2
	s_andn2_saveexec_b64 s[0:1], s[26:27]
; %bb.119:                              ;   in Loop: Header=BB0_107 Depth=2
	v_or_b32_sdwa v18, v1, s57 dst_sel:DWORD dst_unused:UNUSED_PAD src0_sel:BYTE_3 src1_sel:DWORD
; %bb.120:                              ;   in Loop: Header=BB0_107 Depth=2
	s_or_b64 exec, exec, s[0:1]
.LBB0_121:                              ;   in Loop: Header=BB0_107 Depth=2
	s_or_b64 exec, exec, s[24:25]
	v_div_scale_f32 v1, s[0:1], s14, s14, v2
	v_div_scale_f32 v5, vcc, v2, s14, v2
	v_rcp_f32_e32 v16, v1
	v_fma_f32 v17, -v1, v16, 1.0
	v_fmac_f32_e32 v16, v17, v16
	v_mul_f32_e32 v17, v5, v16
	v_fma_f32 v20, -v1, v17, v5
	v_fmac_f32_e32 v17, v20, v16
	v_fma_f32 v1, -v1, v17, v5
	v_div_fmas_f32 v1, v1, v16, v17
	v_div_fixup_f32 v20, v1, s14, v2
	v_and_b32_e32 v5, 0x7f800000, v20
	v_cmp_ne_u64_e32 vcc, s[16:17], v[5:6]
	s_and_saveexec_b64 s[24:25], vcc
	s_cbranch_execz .LBB0_135
; %bb.122:                              ;   in Loop: Header=BB0_107 Depth=2
	v_and_b32_e32 v5, 0x7fffffff, v20
	v_cmp_gt_u64_e32 vcc, s[18:19], v[5:6]
                                        ; implicit-def: $vgpr19
	s_and_saveexec_b64 s[0:1], vcc
	s_xor_b64 s[26:27], exec, s[0:1]
	s_cbranch_execz .LBB0_132
; %bb.123:                              ;   in Loop: Header=BB0_107 Depth=2
	v_mov_b32_e32 v19, 0
	v_cmp_ne_u32_e32 vcc, 0, v20
	s_and_saveexec_b64 s[28:29], vcc
	s_cbranch_execz .LBB0_131
; %bb.124:                              ;   in Loop: Header=BB0_107 Depth=2
	v_bfe_u32 v19, v20, 23, 8
	v_sub_u32_e32 v1, 0x78, v19
	v_cmp_gt_u32_e32 vcc, s55, v19
	v_cndmask_b32_e32 v1, 0, v1, vcc
	v_cmp_eq_u32_e32 vcc, 0, v19
	v_cndmask_b32_e32 v27, v1, v23, vcc
	v_and_b32_e32 v5, 0x7fffff, v20
	v_add_u32_e32 v1, 20, v27
	v_or_b32_e32 v16, 0x800000, v5
	v_lshlrev_b64 v[1:2], v1, -1
	v_cndmask_b32_e32 v5, v16, v5, vcc
	v_bfi_b32 v16, v1, 0, v5
	v_add_u32_e32 v1, 19, v27
	v_bfi_b32 v17, v2, 0, 0
	v_lshlrev_b64 v[28:29], v1, 1
	v_lshrrev_b64 v[1:2], v27, v[5:6]
	v_cmp_eq_u64_e64 s[0:1], v[16:17], v[28:29]
	v_mov_b32_e32 v17, v2
	v_mov_b32_e32 v16, v1
	s_and_saveexec_b64 s[30:31], s[0:1]
; %bb.125:                              ;   in Loop: Header=BB0_107 Depth=2
	v_bfe_u32 v2, v1, 20, 1
	v_add_co_u32_e64 v2, s[0:1], v1, v2
	v_add_co_u32_e64 v16, s[0:1], -1, v2
; %bb.126:                              ;   in Loop: Header=BB0_107 Depth=2
	s_or_b64 exec, exec, s[30:31]
	v_add_u32_e32 v2, 0xffffff81, v19
	v_cndmask_b32_e32 v2, v2, v24, vcc
	v_lshrrev_b32_e32 v5, 23, v1
	v_add3_u32 v19, v27, v2, v5
	v_add_u32_e32 v17, 7, v19
	v_and_b32_e32 v2, 0xfffff, v16
	v_add_u32_e32 v5, v2, v1
	v_cmp_ne_u32_e32 vcc, 0, v17
                                        ; implicit-def: $vgpr1_vgpr2
                                        ; implicit-def: $vgpr16
	s_and_saveexec_b64 s[0:1], vcc
	s_xor_b64 s[0:1], exec, s[0:1]
; %bb.127:                              ;   in Loop: Header=BB0_107 Depth=2
	v_cmp_lt_u64_e32 vcc, s[20:21], v[5:6]
	v_add_u32_e32 v1, 8, v19
	v_cndmask_b32_e32 v16, v17, v1, vcc
	v_cndmask_b32_e64 v1, 0, 1, vcc
	v_lshrrev_b64 v[1:2], v1, v[5:6]
; %bb.128:                              ;   in Loop: Header=BB0_107 Depth=2
	s_andn2_saveexec_b64 s[0:1], s[0:1]
; %bb.129:                              ;   in Loop: Header=BB0_107 Depth=2
	v_mov_b32_e32 v1, v5
	v_bfe_u32 v16, v5, 23, 1
	v_mov_b32_e32 v2, v6
; %bb.130:                              ;   in Loop: Header=BB0_107 Depth=2
	s_or_b64 exec, exec, s[0:1]
	v_lshrrev_b64 v[1:2], 20, v[1:2]
	v_cmp_gt_i32_e32 vcc, 16, v16
	v_min_i32_e32 v17, 15, v16
	v_cndmask_b32_e32 v2, 0, v2, vcc
	v_cndmask_b32_e32 v1, 7, v1, vcc
	v_cmp_eq_u64_e64 s[0:1], 0, v[1:2]
	v_lshlrev_b32_e32 v2, 3, v17
	v_and_b32_sdwa v5, v20, s56 dst_sel:DWORD dst_unused:UNUSED_PAD src0_sel:BYTE_3 src1_sel:DWORD
	v_cmp_eq_u32_e32 vcc, 0, v16
	v_and_b32_e32 v1, 7, v1
	v_and_b32_e32 v2, 0xf8, v2
	v_or3_b32 v1, v2, v5, v1
	s_and_b64 s[0:1], vcc, s[0:1]
	v_cndmask_b32_e64 v19, v1, 0, s[0:1]
.LBB0_131:                              ;   in Loop: Header=BB0_107 Depth=2
	s_or_b64 exec, exec, s[28:29]
                                        ; implicit-def: $vgpr20
.LBB0_132:                              ;   in Loop: Header=BB0_107 Depth=2
	s_andn2_saveexec_b64 s[0:1], s[26:27]
; %bb.133:                              ;   in Loop: Header=BB0_107 Depth=2
	v_or_b32_sdwa v19, v20, s57 dst_sel:DWORD dst_unused:UNUSED_PAD src0_sel:BYTE_3 src1_sel:DWORD
; %bb.134:                              ;   in Loop: Header=BB0_107 Depth=2
	s_or_b64 exec, exec, s[0:1]
.LBB0_135:                              ;   in Loop: Header=BB0_107 Depth=2
	s_or_b64 exec, exec, s[24:25]
	v_div_scale_f32 v1, s[0:1], s14, s14, v3
	v_div_scale_f32 v2, vcc, v3, s14, v3
	v_rcp_f32_e32 v5, v1
	v_fma_f32 v16, -v1, v5, 1.0
	v_fmac_f32_e32 v5, v16, v5
	v_mul_f32_e32 v16, v2, v5
	v_fma_f32 v17, -v1, v16, v2
	v_fmac_f32_e32 v16, v17, v5
	v_fma_f32 v1, -v1, v16, v2
	v_div_fmas_f32 v1, v1, v5, v16
	v_mov_b32_e32 v17, 0x80
	v_mov_b32_e32 v16, 0x80
	v_div_fixup_f32 v20, v1, s14, v3
	v_and_b32_e32 v5, 0x7f800000, v20
	v_cmp_ne_u64_e32 vcc, s[16:17], v[5:6]
	s_and_saveexec_b64 s[24:25], vcc
	s_cbranch_execz .LBB0_149
; %bb.136:                              ;   in Loop: Header=BB0_107 Depth=2
	v_and_b32_e32 v5, 0x7fffffff, v20
	v_cmp_gt_u64_e32 vcc, s[18:19], v[5:6]
                                        ; implicit-def: $vgpr16
	s_and_saveexec_b64 s[0:1], vcc
	s_xor_b64 s[26:27], exec, s[0:1]
	s_cbranch_execz .LBB0_146
; %bb.137:                              ;   in Loop: Header=BB0_107 Depth=2
	v_mov_b32_e32 v16, 0
	v_cmp_ne_u32_e32 vcc, 0, v20
	s_and_saveexec_b64 s[28:29], vcc
	s_cbranch_execz .LBB0_145
; %bb.138:                              ;   in Loop: Header=BB0_107 Depth=2
	v_bfe_u32 v16, v20, 23, 8
	v_sub_u32_e32 v1, 0x78, v16
	v_cmp_gt_u32_e32 vcc, s55, v16
	v_cndmask_b32_e32 v1, 0, v1, vcc
	v_cmp_eq_u32_e32 vcc, 0, v16
	v_cndmask_b32_e32 v27, v1, v23, vcc
	v_and_b32_e32 v3, 0x7fffff, v20
	v_add_u32_e32 v1, 20, v27
	v_or_b32_e32 v5, 0x800000, v3
	v_lshlrev_b64 v[1:2], v1, -1
	v_cndmask_b32_e32 v5, v5, v3, vcc
	v_bfi_b32 v28, v1, 0, v5
	v_add_u32_e32 v1, 19, v27
	v_bfi_b32 v29, v2, 0, 0
	v_lshlrev_b64 v[30:31], v1, 1
	v_lshrrev_b64 v[1:2], v27, v[5:6]
	v_cmp_eq_u64_e64 s[0:1], v[28:29], v[30:31]
	v_mov_b32_e32 v3, v2
	v_mov_b32_e32 v2, v1
	s_and_saveexec_b64 s[30:31], s[0:1]
; %bb.139:                              ;   in Loop: Header=BB0_107 Depth=2
	v_bfe_u32 v2, v1, 20, 1
	v_add_co_u32_e64 v2, s[0:1], v1, v2
	v_add_co_u32_e64 v2, s[0:1], -1, v2
; %bb.140:                              ;   in Loop: Header=BB0_107 Depth=2
	s_or_b64 exec, exec, s[30:31]
	v_add_u32_e32 v3, 0xffffff81, v16
	v_cndmask_b32_e32 v3, v3, v24, vcc
	v_lshrrev_b32_e32 v5, 23, v1
	v_add3_u32 v27, v27, v3, v5
	v_add_u32_e32 v16, 7, v27
	v_and_b32_e32 v2, 0xfffff, v2
	v_add_u32_e32 v5, v2, v1
	v_cmp_ne_u32_e32 vcc, 0, v16
                                        ; implicit-def: $vgpr1_vgpr2
                                        ; implicit-def: $vgpr3
	s_and_saveexec_b64 s[0:1], vcc
	s_xor_b64 s[0:1], exec, s[0:1]
; %bb.141:                              ;   in Loop: Header=BB0_107 Depth=2
	v_cmp_lt_u64_e32 vcc, s[20:21], v[5:6]
	v_add_u32_e32 v1, 8, v27
	v_cndmask_b32_e32 v3, v16, v1, vcc
	v_cndmask_b32_e64 v1, 0, 1, vcc
	v_lshrrev_b64 v[1:2], v1, v[5:6]
; %bb.142:                              ;   in Loop: Header=BB0_107 Depth=2
	s_andn2_saveexec_b64 s[0:1], s[0:1]
; %bb.143:                              ;   in Loop: Header=BB0_107 Depth=2
	v_mov_b32_e32 v1, v5
	v_bfe_u32 v3, v5, 23, 1
	v_mov_b32_e32 v2, v6
; %bb.144:                              ;   in Loop: Header=BB0_107 Depth=2
	s_or_b64 exec, exec, s[0:1]
	v_lshrrev_b64 v[1:2], 20, v[1:2]
	v_cmp_gt_i32_e32 vcc, 16, v3
	v_min_i32_e32 v16, 15, v3
	v_cndmask_b32_e32 v2, 0, v2, vcc
	v_cndmask_b32_e32 v1, 7, v1, vcc
	v_cmp_eq_u64_e64 s[0:1], 0, v[1:2]
	v_lshlrev_b32_e32 v2, 3, v16
	v_and_b32_sdwa v5, v20, s56 dst_sel:DWORD dst_unused:UNUSED_PAD src0_sel:BYTE_3 src1_sel:DWORD
	v_cmp_eq_u32_e32 vcc, 0, v3
	v_and_b32_e32 v1, 7, v1
	v_and_b32_e32 v2, 0xf8, v2
	v_or3_b32 v1, v2, v5, v1
	s_and_b64 s[0:1], vcc, s[0:1]
	v_cndmask_b32_e64 v16, v1, 0, s[0:1]
.LBB0_145:                              ;   in Loop: Header=BB0_107 Depth=2
	s_or_b64 exec, exec, s[28:29]
                                        ; implicit-def: $vgpr20
.LBB0_146:                              ;   in Loop: Header=BB0_107 Depth=2
	s_andn2_saveexec_b64 s[0:1], s[26:27]
; %bb.147:                              ;   in Loop: Header=BB0_107 Depth=2
	v_or_b32_sdwa v16, v20, s57 dst_sel:DWORD dst_unused:UNUSED_PAD src0_sel:BYTE_3 src1_sel:DWORD
; %bb.148:                              ;   in Loop: Header=BB0_107 Depth=2
	s_or_b64 exec, exec, s[0:1]
.LBB0_149:                              ;   in Loop: Header=BB0_107 Depth=2
	s_or_b64 exec, exec, s[24:25]
	v_div_scale_f32 v1, s[0:1], s14, s14, v4
	v_div_scale_f32 v2, vcc, v4, s14, v4
	v_rcp_f32_e32 v3, v1
	v_fma_f32 v5, -v1, v3, 1.0
	v_fmac_f32_e32 v3, v5, v3
	v_mul_f32_e32 v5, v2, v3
	v_fma_f32 v20, -v1, v5, v2
	v_fmac_f32_e32 v5, v20, v3
	v_fma_f32 v1, -v1, v5, v2
	v_div_fmas_f32 v1, v1, v3, v5
	v_div_fixup_f32 v4, v1, s14, v4
	v_and_b32_e32 v5, 0x7f800000, v4
	v_cmp_ne_u64_e32 vcc, s[16:17], v[5:6]
	s_and_saveexec_b64 s[24:25], vcc
	s_cbranch_execz .LBB0_106
; %bb.150:                              ;   in Loop: Header=BB0_107 Depth=2
	v_and_b32_e32 v5, 0x7fffffff, v4
	v_cmp_gt_u64_e32 vcc, s[18:19], v[5:6]
                                        ; implicit-def: $vgpr17
	s_and_saveexec_b64 s[0:1], vcc
	s_xor_b64 s[26:27], exec, s[0:1]
	s_cbranch_execz .LBB0_160
; %bb.151:                              ;   in Loop: Header=BB0_107 Depth=2
	v_mov_b32_e32 v17, 0
	v_cmp_ne_u32_e32 vcc, 0, v4
	s_and_saveexec_b64 s[28:29], vcc
	s_cbranch_execz .LBB0_159
; %bb.152:                              ;   in Loop: Header=BB0_107 Depth=2
	v_bfe_u32 v17, v4, 23, 8
	v_sub_u32_e32 v1, 0x78, v17
	v_cmp_gt_u32_e32 vcc, s55, v17
	v_cndmask_b32_e32 v1, 0, v1, vcc
	v_cmp_eq_u32_e32 vcc, 0, v17
	v_cndmask_b32_e32 v20, v1, v23, vcc
	v_and_b32_e32 v3, 0x7fffff, v4
	v_add_u32_e32 v1, 20, v20
	v_or_b32_e32 v5, 0x800000, v3
	v_lshlrev_b64 v[1:2], v1, -1
	v_cndmask_b32_e32 v5, v5, v3, vcc
	v_bfi_b32 v27, v1, 0, v5
	v_add_u32_e32 v1, 19, v20
	v_bfi_b32 v28, v2, 0, 0
	v_lshlrev_b64 v[29:30], v1, 1
	v_lshrrev_b64 v[1:2], v20, v[5:6]
	v_cmp_eq_u64_e64 s[0:1], v[27:28], v[29:30]
	v_mov_b32_e32 v3, v2
	v_mov_b32_e32 v2, v1
	s_and_saveexec_b64 s[30:31], s[0:1]
; %bb.153:                              ;   in Loop: Header=BB0_107 Depth=2
	v_bfe_u32 v2, v1, 20, 1
	v_add_co_u32_e64 v2, s[0:1], v1, v2
	v_add_co_u32_e64 v2, s[0:1], -1, v2
; %bb.154:                              ;   in Loop: Header=BB0_107 Depth=2
	s_or_b64 exec, exec, s[30:31]
	v_add_u32_e32 v3, 0xffffff81, v17
	v_cndmask_b32_e32 v3, v3, v24, vcc
	v_lshrrev_b32_e32 v5, 23, v1
	v_add3_u32 v20, v20, v3, v5
	v_add_u32_e32 v17, 7, v20
	v_and_b32_e32 v2, 0xfffff, v2
	v_add_u32_e32 v5, v2, v1
	v_cmp_ne_u32_e32 vcc, 0, v17
                                        ; implicit-def: $vgpr1_vgpr2
                                        ; implicit-def: $vgpr3
	s_and_saveexec_b64 s[0:1], vcc
	s_xor_b64 s[0:1], exec, s[0:1]
; %bb.155:                              ;   in Loop: Header=BB0_107 Depth=2
	v_cmp_lt_u64_e32 vcc, s[20:21], v[5:6]
	v_add_u32_e32 v1, 8, v20
	v_cndmask_b32_e32 v3, v17, v1, vcc
	v_cndmask_b32_e64 v1, 0, 1, vcc
	v_lshrrev_b64 v[1:2], v1, v[5:6]
; %bb.156:                              ;   in Loop: Header=BB0_107 Depth=2
	s_andn2_saveexec_b64 s[0:1], s[0:1]
; %bb.157:                              ;   in Loop: Header=BB0_107 Depth=2
	v_mov_b32_e32 v1, v5
	v_bfe_u32 v3, v5, 23, 1
	v_mov_b32_e32 v2, v6
; %bb.158:                              ;   in Loop: Header=BB0_107 Depth=2
	s_or_b64 exec, exec, s[0:1]
	v_lshrrev_b64 v[1:2], 20, v[1:2]
	v_cmp_gt_i32_e32 vcc, 16, v3
	v_min_i32_e32 v5, 15, v3
	v_cndmask_b32_e32 v2, 0, v2, vcc
	v_cndmask_b32_e32 v1, 7, v1, vcc
	v_cmp_eq_u64_e64 s[0:1], 0, v[1:2]
	v_lshlrev_b32_e32 v2, 3, v5
	v_and_b32_sdwa v4, v4, s56 dst_sel:DWORD dst_unused:UNUSED_PAD src0_sel:BYTE_3 src1_sel:DWORD
	v_cmp_eq_u32_e32 vcc, 0, v3
	v_and_b32_e32 v1, 7, v1
	v_and_b32_e32 v2, 0xf8, v2
	v_or3_b32 v1, v2, v4, v1
	s_and_b64 s[0:1], vcc, s[0:1]
	v_cndmask_b32_e64 v17, v1, 0, s[0:1]
.LBB0_159:                              ;   in Loop: Header=BB0_107 Depth=2
	s_or_b64 exec, exec, s[28:29]
                                        ; implicit-def: $vgpr4
.LBB0_160:                              ;   in Loop: Header=BB0_107 Depth=2
	s_andn2_saveexec_b64 s[0:1], s[26:27]
	s_cbranch_execz .LBB0_105
; %bb.161:                              ;   in Loop: Header=BB0_107 Depth=2
	v_or_b32_sdwa v17, v4, s57 dst_sel:DWORD dst_unused:UNUSED_PAD src0_sel:BYTE_3 src1_sel:DWORD
	s_branch .LBB0_105
.LBB0_162:                              ;   in Loop: Header=BB0_7 Depth=1
	s_or_b64 exec, exec, s[22:23]
	s_andn2_b64 vcc, exec, s[6:7]
	s_cbranch_vccnz .LBB0_6
; %bb.163:                              ;   in Loop: Header=BB0_7 Depth=1
	v_mov_b32_e32 v1, s44
	v_add_co_u32_e32 v2, vcc, s43, v7
	v_addc_co_u32_e32 v5, vcc, v1, v8, vcc
	v_mul_lo_u32 v3, v11, s12
	v_add_co_u32_e32 v1, vcc, v2, v9
	v_addc_co_u32_e32 v2, vcc, v5, v10, vcc
	v_mov_b32_e32 v5, s46
	v_add_co_u32_e32 v7, vcc, s45, v25
	v_addc_co_u32_e32 v5, vcc, v5, v26, vcc
	v_ashrrev_i32_e32 v4, 31, v3
	v_add_co_u32_e32 v3, vcc, v7, v3
	v_addc_co_u32_e32 v4, vcc, v5, v4, vcc
	v_mov_b32_e32 v5, s40
	v_add_co_u32_e32 v7, vcc, s39, v3
	v_addc_co_u32_e32 v8, vcc, v4, v5, vcc
	s_mov_b32 s30, 0
	s_mov_b32 s31, s13
	s_branch .LBB0_166
.LBB0_164:                              ;   in Loop: Header=BB0_166 Depth=2
	s_or_b64 exec, exec, s[0:1]
.LBB0_165:                              ;   in Loop: Header=BB0_166 Depth=2
	s_or_b64 exec, exec, s[22:23]
	s_ashr_i32 s0, s30, 31
	v_mov_b32_e32 v5, s0
	v_add_co_u32_e32 v4, vcc, s30, v7
	v_addc_co_u32_e32 v5, vcc, v8, v5, vcc
	s_add_i32 s31, s31, -1
	s_add_i32 s30, s30, s12
	v_add_co_u32_e32 v1, vcc, 4, v1
	s_cmp_eq_u32 s31, 0
	v_addc_co_u32_e32 v2, vcc, 0, v2, vcc
	global_store_byte v[4:5], v3, off
	s_cbranch_scc1 .LBB0_6
.LBB0_166:                              ;   Parent Loop BB0_7 Depth=1
                                        ; =>  This Inner Loop Header: Depth=2
	global_load_dword v3, v[1:2], off
	s_waitcnt vmcnt(0)
	v_div_scale_f32 v4, s[0:1], s15, s15, v3
	v_div_scale_f32 v5, vcc, v3, s15, v3
	v_rcp_f32_e32 v9, v4
	v_fma_f32 v10, -v4, v9, 1.0
	v_fmac_f32_e32 v9, v10, v9
	v_mul_f32_e32 v10, v5, v9
	v_fma_f32 v11, -v4, v10, v5
	v_fmac_f32_e32 v10, v11, v9
	v_fma_f32 v4, -v4, v10, v5
	v_div_fmas_f32 v4, v4, v9, v10
	v_div_fixup_f32 v9, v4, s15, v3
	v_and_b32_e32 v5, 0x7f800000, v9
	v_cmp_ne_u64_e32 vcc, s[16:17], v[5:6]
	v_mov_b32_e32 v3, 0x80
	s_and_saveexec_b64 s[22:23], vcc
	s_cbranch_execz .LBB0_165
; %bb.167:                              ;   in Loop: Header=BB0_166 Depth=2
	v_and_b32_e32 v5, 0x7fffffff, v9
	v_cmp_gt_u64_e32 vcc, s[18:19], v[5:6]
                                        ; implicit-def: $vgpr3
	s_and_saveexec_b64 s[0:1], vcc
	s_xor_b64 s[24:25], exec, s[0:1]
	s_cbranch_execz .LBB0_177
; %bb.168:                              ;   in Loop: Header=BB0_166 Depth=2
	v_cmp_ne_u32_e32 vcc, 0, v9
	v_mov_b32_e32 v3, 0
	s_and_saveexec_b64 s[26:27], vcc
	s_cbranch_execz .LBB0_176
; %bb.169:                              ;   in Loop: Header=BB0_166 Depth=2
	v_bfe_u32 v10, v9, 23, 8
	v_sub_u32_e32 v3, 0x78, v10
	v_cmp_gt_u32_e32 vcc, s55, v10
	v_cndmask_b32_e32 v3, 0, v3, vcc
	v_cmp_eq_u32_e32 vcc, 0, v10
	v_cndmask_b32_e32 v11, v3, v23, vcc
	v_and_b32_e32 v5, 0x7fffff, v9
	v_add_u32_e32 v3, 20, v11
	v_or_b32_e32 v12, 0x800000, v5
	v_lshlrev_b64 v[3:4], v3, -1
	v_cndmask_b32_e32 v5, v12, v5, vcc
	v_bfi_b32 v12, v3, 0, v5
	v_add_u32_e32 v3, 19, v11
	v_bfi_b32 v13, v4, 0, 0
	v_lshlrev_b64 v[14:15], v3, 1
	v_lshrrev_b64 v[3:4], v11, v[5:6]
	v_cmp_eq_u64_e64 s[0:1], v[12:13], v[14:15]
	v_mov_b32_e32 v5, v4
	v_mov_b32_e32 v4, v3
	s_and_saveexec_b64 s[28:29], s[0:1]
; %bb.170:                              ;   in Loop: Header=BB0_166 Depth=2
	v_bfe_u32 v4, v3, 20, 1
	v_add_co_u32_e64 v4, s[0:1], v3, v4
	v_add_co_u32_e64 v4, s[0:1], -1, v4
; %bb.171:                              ;   in Loop: Header=BB0_166 Depth=2
	s_or_b64 exec, exec, s[28:29]
	v_add_u32_e32 v5, 0xffffff81, v10
	v_cndmask_b32_e32 v5, v5, v24, vcc
	v_lshrrev_b32_e32 v10, 23, v3
	v_add3_u32 v12, v11, v5, v10
	v_add_u32_e32 v11, 7, v12
	v_and_b32_e32 v4, 0xfffff, v4
	v_add_u32_e32 v5, v4, v3
	v_cmp_ne_u32_e32 vcc, 0, v11
                                        ; implicit-def: $vgpr3_vgpr4
                                        ; implicit-def: $vgpr10
	s_and_saveexec_b64 s[0:1], vcc
	s_xor_b64 s[0:1], exec, s[0:1]
; %bb.172:                              ;   in Loop: Header=BB0_166 Depth=2
	v_cmp_lt_u64_e32 vcc, s[20:21], v[5:6]
	v_add_u32_e32 v3, 8, v12
	v_cndmask_b32_e32 v10, v11, v3, vcc
	v_cndmask_b32_e64 v3, 0, 1, vcc
	v_lshrrev_b64 v[3:4], v3, v[5:6]
; %bb.173:                              ;   in Loop: Header=BB0_166 Depth=2
	s_andn2_saveexec_b64 s[0:1], s[0:1]
; %bb.174:                              ;   in Loop: Header=BB0_166 Depth=2
	v_mov_b32_e32 v3, v5
	v_bfe_u32 v10, v5, 23, 1
	v_mov_b32_e32 v4, v6
; %bb.175:                              ;   in Loop: Header=BB0_166 Depth=2
	s_or_b64 exec, exec, s[0:1]
	v_lshrrev_b64 v[3:4], 20, v[3:4]
	v_cmp_gt_i32_e32 vcc, 16, v10
	v_cndmask_b32_e32 v4, 0, v4, vcc
	v_cndmask_b32_e32 v3, 7, v3, vcc
	v_and_b32_sdwa v5, v9, s56 dst_sel:DWORD dst_unused:UNUSED_PAD src0_sel:BYTE_3 src1_sel:DWORD
	v_min_i32_e32 v9, 15, v10
	v_cmp_eq_u64_e64 s[0:1], 0, v[3:4]
	v_cmp_eq_u32_e32 vcc, 0, v10
	v_lshl_or_b32 v4, v9, 3, v5
	v_and_or_b32 v3, v3, 7, v4
	s_and_b64 s[0:1], vcc, s[0:1]
	v_cndmask_b32_e64 v3, v3, 0, s[0:1]
.LBB0_176:                              ;   in Loop: Header=BB0_166 Depth=2
	s_or_b64 exec, exec, s[26:27]
                                        ; implicit-def: $vgpr9
.LBB0_177:                              ;   in Loop: Header=BB0_166 Depth=2
	s_andn2_saveexec_b64 s[0:1], s[24:25]
	s_cbranch_execz .LBB0_164
; %bb.178:                              ;   in Loop: Header=BB0_166 Depth=2
	v_or_b32_sdwa v3, v9, s57 dst_sel:DWORD dst_unused:UNUSED_PAD src0_sel:BYTE_3 src1_sel:DWORD
	s_branch .LBB0_164
.LBB0_179:
	s_endpgm
.LBB0_180:
                                        ; implicit-def: $sgpr24_sgpr25
	s_branch .LBB0_3
	.section	.rodata,"a",@progbits
	.p2align	6, 0x0
	.amdhsa_kernel _Z24reshape_and_cache_kernelIfhL18Fp8KVCacheDataType1EEvPKT_S3_PT0_S5_PKliiiiiiff
		.amdhsa_group_segment_fixed_size 0
		.amdhsa_private_segment_fixed_size 0
		.amdhsa_kernarg_size 328
		.amdhsa_user_sgpr_count 6
		.amdhsa_user_sgpr_private_segment_buffer 1
		.amdhsa_user_sgpr_dispatch_ptr 0
		.amdhsa_user_sgpr_queue_ptr 0
		.amdhsa_user_sgpr_kernarg_segment_ptr 1
		.amdhsa_user_sgpr_dispatch_id 0
		.amdhsa_user_sgpr_flat_scratch_init 0
		.amdhsa_user_sgpr_private_segment_size 0
		.amdhsa_uses_dynamic_stack 0
		.amdhsa_system_sgpr_private_segment_wavefront_offset 0
		.amdhsa_system_sgpr_workgroup_id_x 1
		.amdhsa_system_sgpr_workgroup_id_y 0
		.amdhsa_system_sgpr_workgroup_id_z 0
		.amdhsa_system_sgpr_workgroup_info 0
		.amdhsa_system_vgpr_workitem_id 0
		.amdhsa_next_free_vgpr 39
		.amdhsa_next_free_sgpr 58
		.amdhsa_reserve_vcc 1
		.amdhsa_reserve_flat_scratch 0
		.amdhsa_float_round_mode_32 0
		.amdhsa_float_round_mode_16_64 0
		.amdhsa_float_denorm_mode_32 3
		.amdhsa_float_denorm_mode_16_64 3
		.amdhsa_dx10_clamp 1
		.amdhsa_ieee_mode 1
		.amdhsa_fp16_overflow 0
		.amdhsa_exception_fp_ieee_invalid_op 0
		.amdhsa_exception_fp_denorm_src 0
		.amdhsa_exception_fp_ieee_div_zero 0
		.amdhsa_exception_fp_ieee_overflow 0
		.amdhsa_exception_fp_ieee_underflow 0
		.amdhsa_exception_fp_ieee_inexact 0
		.amdhsa_exception_int_div_zero 0
	.end_amdhsa_kernel
	.section	.text._Z24reshape_and_cache_kernelIfhL18Fp8KVCacheDataType1EEvPKT_S3_PT0_S5_PKliiiiiiff,"axG",@progbits,_Z24reshape_and_cache_kernelIfhL18Fp8KVCacheDataType1EEvPKT_S3_PT0_S5_PKliiiiiiff,comdat
.Lfunc_end0:
	.size	_Z24reshape_and_cache_kernelIfhL18Fp8KVCacheDataType1EEvPKT_S3_PT0_S5_PKliiiiiiff, .Lfunc_end0-_Z24reshape_and_cache_kernelIfhL18Fp8KVCacheDataType1EEvPKT_S3_PT0_S5_PKliiiiiiff
                                        ; -- End function
	.set _Z24reshape_and_cache_kernelIfhL18Fp8KVCacheDataType1EEvPKT_S3_PT0_S5_PKliiiiiiff.num_vgpr, 39
	.set _Z24reshape_and_cache_kernelIfhL18Fp8KVCacheDataType1EEvPKT_S3_PT0_S5_PKliiiiiiff.num_agpr, 0
	.set _Z24reshape_and_cache_kernelIfhL18Fp8KVCacheDataType1EEvPKT_S3_PT0_S5_PKliiiiiiff.numbered_sgpr, 58
	.set _Z24reshape_and_cache_kernelIfhL18Fp8KVCacheDataType1EEvPKT_S3_PT0_S5_PKliiiiiiff.num_named_barrier, 0
	.set _Z24reshape_and_cache_kernelIfhL18Fp8KVCacheDataType1EEvPKT_S3_PT0_S5_PKliiiiiiff.private_seg_size, 0
	.set _Z24reshape_and_cache_kernelIfhL18Fp8KVCacheDataType1EEvPKT_S3_PT0_S5_PKliiiiiiff.uses_vcc, 1
	.set _Z24reshape_and_cache_kernelIfhL18Fp8KVCacheDataType1EEvPKT_S3_PT0_S5_PKliiiiiiff.uses_flat_scratch, 0
	.set _Z24reshape_and_cache_kernelIfhL18Fp8KVCacheDataType1EEvPKT_S3_PT0_S5_PKliiiiiiff.has_dyn_sized_stack, 0
	.set _Z24reshape_and_cache_kernelIfhL18Fp8KVCacheDataType1EEvPKT_S3_PT0_S5_PKliiiiiiff.has_recursion, 0
	.set _Z24reshape_and_cache_kernelIfhL18Fp8KVCacheDataType1EEvPKT_S3_PT0_S5_PKliiiiiiff.has_indirect_call, 0
	.section	.AMDGPU.csdata,"",@progbits
; Kernel info:
; codeLenInByte = 7744
; TotalNumSgprs: 62
; NumVgprs: 39
; ScratchSize: 0
; MemoryBound: 0
; FloatMode: 240
; IeeeMode: 1
; LDSByteSize: 0 bytes/workgroup (compile time only)
; SGPRBlocks: 7
; VGPRBlocks: 9
; NumSGPRsForWavesPerEU: 62
; NumVGPRsForWavesPerEU: 39
; Occupancy: 6
; WaveLimiterHint : 1
; COMPUTE_PGM_RSRC2:SCRATCH_EN: 0
; COMPUTE_PGM_RSRC2:USER_SGPR: 6
; COMPUTE_PGM_RSRC2:TRAP_HANDLER: 0
; COMPUTE_PGM_RSRC2:TGID_X_EN: 1
; COMPUTE_PGM_RSRC2:TGID_Y_EN: 0
; COMPUTE_PGM_RSRC2:TGID_Z_EN: 0
; COMPUTE_PGM_RSRC2:TIDIG_COMP_CNT: 0
	.section	.text._Z24reshape_and_cache_kernelI14__hip_bfloat16hL18Fp8KVCacheDataType1EEvPKT_S4_PT0_S6_PKliiiiiiff,"axG",@progbits,_Z24reshape_and_cache_kernelI14__hip_bfloat16hL18Fp8KVCacheDataType1EEvPKT_S4_PT0_S6_PKliiiiiiff,comdat
	.protected	_Z24reshape_and_cache_kernelI14__hip_bfloat16hL18Fp8KVCacheDataType1EEvPKT_S4_PT0_S6_PKliiiiiiff ; -- Begin function _Z24reshape_and_cache_kernelI14__hip_bfloat16hL18Fp8KVCacheDataType1EEvPKT_S4_PT0_S6_PKliiiiiiff
	.globl	_Z24reshape_and_cache_kernelI14__hip_bfloat16hL18Fp8KVCacheDataType1EEvPKT_S4_PT0_S6_PKliiiiiiff
	.p2align	8
	.type	_Z24reshape_and_cache_kernelI14__hip_bfloat16hL18Fp8KVCacheDataType1EEvPKT_S4_PT0_S6_PKliiiiiiff,@function
_Z24reshape_and_cache_kernelI14__hip_bfloat16hL18Fp8KVCacheDataType1EEvPKT_S4_PT0_S6_PKliiiiiiff: ; @_Z24reshape_and_cache_kernelI14__hip_bfloat16hL18Fp8KVCacheDataType1EEvPKT_S4_PT0_S6_PKliiiiiiff
; %bb.0:
	s_load_dwordx2 s[0:1], s[4:5], 0x20
	s_mov_b32 s7, 0
	s_lshl_b64 s[2:3], s[6:7], 3
	s_waitcnt lgkmcnt(0)
	s_add_u32 s0, s0, s2
	s_addc_u32 s1, s1, s3
	s_load_dwordx2 s[0:1], s[0:1], 0x0
	s_waitcnt lgkmcnt(0)
	v_cmp_lt_i64_e64 s[2:3], s[0:1], 0
	s_and_b64 vcc, exec, s[2:3]
	s_cbranch_vccnz .LBB1_291
; %bb.1:
	s_load_dwordx8 s[8:15], s[4:5], 0x28
	s_waitcnt lgkmcnt(0)
	s_ashr_i32 s3, s12, 31
	s_mov_b32 s2, s12
	s_or_b64 s[16:17], s[0:1], s[2:3]
	s_mov_b32 s16, s7
	s_cmp_lg_u64 s[16:17], 0
	s_cbranch_scc0 .LBB1_292
; %bb.2:
	s_ashr_i32 s16, s3, 31
	s_add_u32 s18, s2, s16
	s_mov_b32 s17, s16
	s_addc_u32 s19, s3, s16
	s_xor_b64 s[20:21], s[18:19], s[16:17]
	v_cvt_f32_u32_e32 v1, s20
	v_cvt_f32_u32_e32 v2, s21
	s_sub_u32 s7, 0, s20
	s_subb_u32 s24, 0, s21
	v_madmk_f32 v1, v2, 0x4f800000, v1
	v_rcp_f32_e32 v1, v1
	v_mul_f32_e32 v1, 0x5f7ffffc, v1
	v_mul_f32_e32 v2, 0x2f800000, v1
	v_trunc_f32_e32 v2, v2
	v_madmk_f32 v1, v2, 0xcf800000, v1
	v_cvt_u32_f32_e32 v2, v2
	v_cvt_u32_f32_e32 v1, v1
	v_readfirstlane_b32 s25, v2
	v_readfirstlane_b32 s22, v1
	s_mul_i32 s23, s7, s25
	s_mul_hi_u32 s27, s7, s22
	s_mul_i32 s26, s24, s22
	s_add_i32 s23, s27, s23
	s_add_i32 s23, s23, s26
	s_mul_i32 s28, s7, s22
	s_mul_i32 s27, s22, s23
	s_mul_hi_u32 s29, s22, s28
	s_mul_hi_u32 s26, s22, s23
	s_add_u32 s27, s29, s27
	s_addc_u32 s26, 0, s26
	s_mul_hi_u32 s30, s25, s28
	s_mul_i32 s28, s25, s28
	s_add_u32 s27, s27, s28
	s_mul_hi_u32 s29, s25, s23
	s_addc_u32 s26, s26, s30
	s_addc_u32 s27, s29, 0
	s_mul_i32 s23, s25, s23
	s_add_u32 s23, s26, s23
	s_addc_u32 s26, 0, s27
	s_add_u32 s27, s22, s23
	s_cselect_b64 s[22:23], -1, 0
	s_cmp_lg_u64 s[22:23], 0
	s_addc_u32 s25, s25, s26
	s_mul_i32 s22, s7, s25
	s_mul_hi_u32 s23, s7, s27
	s_add_i32 s22, s23, s22
	s_mul_i32 s24, s24, s27
	s_add_i32 s22, s22, s24
	s_mul_i32 s7, s7, s27
	s_mul_hi_u32 s24, s25, s7
	s_mul_i32 s26, s25, s7
	s_mul_i32 s29, s27, s22
	s_mul_hi_u32 s7, s27, s7
	s_mul_hi_u32 s28, s27, s22
	s_add_u32 s7, s7, s29
	s_addc_u32 s28, 0, s28
	s_add_u32 s7, s7, s26
	s_mul_hi_u32 s23, s25, s22
	s_addc_u32 s7, s28, s24
	s_addc_u32 s23, s23, 0
	s_mul_i32 s22, s25, s22
	s_add_u32 s7, s7, s22
	s_addc_u32 s24, 0, s23
	s_add_u32 s7, s27, s7
	s_cselect_b64 s[22:23], -1, 0
	s_cmp_lg_u64 s[22:23], 0
	s_addc_u32 s26, s25, s24
	s_ashr_i32 s22, s1, 31
	s_add_u32 s24, s0, s22
	s_mov_b32 s23, s22
	s_addc_u32 s25, s1, s22
	s_xor_b64 s[24:25], s[24:25], s[22:23]
	s_mul_i32 s28, s24, s26
	s_mul_hi_u32 s29, s24, s7
	s_mul_hi_u32 s27, s24, s26
	s_add_u32 s28, s29, s28
	s_addc_u32 s27, 0, s27
	s_mul_hi_u32 s30, s25, s7
	s_mul_i32 s7, s25, s7
	s_add_u32 s7, s28, s7
	s_mul_hi_u32 s29, s25, s26
	s_addc_u32 s7, s27, s30
	s_addc_u32 s27, s29, 0
	s_mul_i32 s26, s25, s26
	s_add_u32 s7, s7, s26
	s_addc_u32 s30, 0, s27
	s_mul_i32 s26, s20, s30
	s_mul_hi_u32 s27, s20, s7
	s_add_i32 s26, s27, s26
	s_mul_i32 s27, s21, s7
	s_add_i32 s31, s26, s27
	s_sub_i32 s28, s25, s31
	s_mul_i32 s26, s20, s7
	s_sub_u32 s24, s24, s26
	s_cselect_b64 s[26:27], -1, 0
	s_cmp_lg_u64 s[26:27], 0
	s_subb_u32 s33, s28, s21
	s_sub_u32 s34, s24, s20
	s_cselect_b64 s[28:29], -1, 0
	s_cmp_lg_u64 s[28:29], 0
	s_subb_u32 s28, s33, 0
	s_cmp_ge_u32 s28, s21
	s_cselect_b32 s29, -1, 0
	s_cmp_ge_u32 s34, s20
	s_cselect_b32 s33, -1, 0
	s_cmp_eq_u32 s28, s21
	s_cselect_b32 s28, s33, s29
	s_add_u32 s29, s7, 1
	s_addc_u32 s33, s30, 0
	s_add_u32 s34, s7, 2
	s_addc_u32 s35, s30, 0
	s_cmp_lg_u32 s28, 0
	s_cselect_b32 s28, s34, s29
	s_cselect_b32 s29, s35, s33
	s_cmp_lg_u64 s[26:27], 0
	s_subb_u32 s25, s25, s31
	s_cmp_ge_u32 s25, s21
	s_cselect_b32 s26, -1, 0
	s_cmp_ge_u32 s24, s20
	s_cselect_b32 s20, -1, 0
	s_cmp_eq_u32 s25, s21
	s_cselect_b32 s20, s20, s26
	s_cmp_lg_u32 s20, 0
	s_cselect_b32 s21, s29, s30
	s_cselect_b32 s20, s28, s7
	s_xor_b64 s[16:17], s[22:23], s[16:17]
	s_xor_b64 s[20:21], s[20:21], s[16:17]
	s_sub_u32 s24, s20, s16
	s_subb_u32 s25, s21, s17
	s_cbranch_execnz .LBB1_4
.LBB1_3:
	v_cvt_f32_u32_e32 v1, s2
	s_sub_i32 s7, 0, s2
	s_mov_b32 s25, 0
	v_rcp_iflag_f32_e32 v1, v1
	v_mul_f32_e32 v1, 0x4f7ffffe, v1
	v_cvt_u32_f32_e32 v1, v1
	v_readfirstlane_b32 s16, v1
	s_mul_i32 s7, s7, s16
	s_mul_hi_u32 s7, s16, s7
	s_add_i32 s16, s16, s7
	s_mul_hi_u32 s7, s0, s16
	s_mul_i32 s17, s7, s2
	s_sub_i32 s17, s0, s17
	s_add_i32 s16, s7, 1
	s_sub_i32 s18, s17, s2
	s_cmp_ge_u32 s17, s2
	s_cselect_b32 s7, s16, s7
	s_cselect_b32 s17, s18, s17
	s_add_i32 s16, s7, 1
	s_cmp_ge_u32 s17, s2
	s_cselect_b32 s24, s16, s7
.LBB1_4:
	s_abs_i32 s7, s13
	v_cvt_f32_u32_e32 v1, s7
	s_sub_i32 s18, 0, s7
	s_abs_i32 s17, s11
	s_xor_b32 s16, s11, s13
	v_rcp_iflag_f32_e32 v1, v1
	s_ashr_i32 s16, s16, 31
	v_mul_f32_e32 v1, 0x4f7ffffe, v1
	v_cvt_u32_f32_e32 v1, v1
	v_readfirstlane_b32 s19, v1
	s_mul_i32 s18, s18, s19
	s_mul_hi_u32 s18, s19, s18
	s_add_i32 s19, s19, s18
	s_mul_hi_u32 s18, s17, s19
	s_mul_i32 s19, s18, s7
	s_sub_i32 s17, s17, s19
	s_add_i32 s20, s18, 1
	s_sub_i32 s19, s17, s7
	s_cmp_ge_u32 s17, s7
	s_cselect_b32 s18, s20, s18
	s_cselect_b32 s17, s19, s17
	s_add_i32 s19, s18, 1
	s_cmp_ge_u32 s17, s7
	s_cselect_b32 s7, s19, s18
	s_xor_b32 s7, s7, s16
	s_sub_i32 s33, s7, s16
	s_mul_i32 s38, s33, s10
	v_cmp_gt_i32_e32 vcc, s38, v0
	s_and_saveexec_b64 s[16:17], vcc
	s_cbranch_execz .LBB1_291
; %bb.5:
	s_mul_i32 s3, s24, s3
	s_mul_hi_u32 s7, s24, s2
	s_add_i32 s3, s7, s3
	s_mul_i32 s7, s25, s2
	s_add_i32 s28, s3, s7
	s_mul_i32 s29, s24, s2
	s_load_dwordx8 s[16:23], s[4:5], 0x0
	s_sub_u32 s39, s0, s29
	s_subb_u32 s40, s1, s28
	s_ashr_i32 s3, s8, 31
	s_mul_hi_u32 s7, s8, s6
	s_mul_i32 s3, s3, s6
	s_add_i32 s27, s7, s3
	s_mul_i32 s26, s8, s6
	s_lshl_b64 s[26:27], s[26:27], 1
	s_waitcnt lgkmcnt(0)
	s_add_u32 s41, s16, s26
	s_addc_u32 s42, s17, s27
	s_ashr_i32 s3, s9, 31
	s_mul_hi_u32 s7, s9, s6
	s_mul_i32 s3, s3, s6
	s_add_i32 s7, s7, s3
	s_mul_i32 s3, s38, s25
	s_mul_hi_u32 s8, s38, s24
	s_mul_hi_i32 s16, s10, s33
	s_add_i32 s3, s8, s3
	s_mul_i32 s8, s16, s24
	s_mul_i32 s6, s9, s6
	s_add_i32 s3, s3, s8
	s_mul_i32 s8, s38, s24
	s_mul_hi_i32 s9, s13, s2
	s_mul_i32 s2, s13, s2
	s_mul_hi_u32 s10, s2, s8
	s_mul_i32 s3, s2, s3
	s_add_i32 s3, s10, s3
	s_mul_i32 s9, s9, s8
	s_ashr_i32 s17, s13, 31
	s_add_i32 s24, s3, s9
	s_mul_i32 s25, s2, s8
	s_and_b32 s2, s13, 7
	s_cmp_eq_u32 s2, 0
	s_cselect_b64 s[8:9], -1, 0
	s_ashr_i32 s10, s13, 3
	s_cmp_gt_i32 s10, 0
	s_cselect_b64 s[2:3], -1, 0
	s_lshl_b64 s[6:7], s[6:7], 1
	s_add_u32 s43, s18, s6
	s_addc_u32 s44, s19, s7
	s_add_u32 s45, s22, s25
	s_addc_u32 s46, s23, s24
	s_cmp_gt_i32 s13, 0
	s_cselect_b64 s[6:7], -1, 0
	s_abs_i32 s47, s33
	v_cvt_f32_u32_e32 v1, s47
	s_load_dword s4, s[4:5], 0x54
	s_sub_i32 s18, 0, s47
	s_ashr_i32 s50, s33, 31
	v_rcp_iflag_f32_e32 v1, v1
	s_mul_i32 s48, s13, s12
	s_waitcnt lgkmcnt(0)
	s_and_b32 s49, s4, 0xffff
	s_add_u32 s4, s38, -1
	v_mul_f32_e32 v1, 0x4f7ffffe, v1
	v_cvt_u32_f32_e32 v1, v1
	s_addc_u32 s5, s16, -1
	s_mul_i32 s5, s29, s5
	s_mul_hi_u32 s16, s29, s4
	v_mul_lo_u32 v2, s18, v1
	s_mul_i32 s28, s28, s4
	s_add_i32 s5, s16, s5
	s_add_i32 s5, s5, s28
	s_mul_i32 s29, s29, s4
	s_add_u32 s0, s0, s29
	v_mul_hi_u32 v2, v1, v2
	s_addc_u32 s1, s1, s5
	s_mul_i32 s4, s0, s17
	s_mul_hi_u32 s5, s0, s13
	s_add_i32 s4, s5, s4
	s_mul_i32 s1, s1, s13
	s_add_i32 s4, s4, s1
	s_mul_i32 s0, s0, s13
	s_add_u32 s51, s20, s0
	v_add_u32_e32 v28, v1, v2
	v_mov_b32_e32 v6, 0
	s_addc_u32 s52, s21, s4
	s_mov_b64 s[4:5], 0
	v_mov_b32_e32 v29, s42
	s_xor_b64 s[8:9], s[8:9], -1
	s_mov_b64 s[16:17], 0x7f800000
	s_mov_b64 s[18:19], 0x43700001
	s_movk_i32 s53, 0x79
	s_mov_b64 s[20:21], 0xffffff
	s_movk_i32 s54, 0x80
	s_movk_i32 s55, 0x7f
	s_mov_b32 s56, 0xff00
	s_mov_b32 s57, 0x4020c0c
	v_mov_b32_e32 v30, 0x77
	v_mov_b32_e32 v31, 0xffffff82
	s_branch .LBB1_7
.LBB1_6:                                ;   in Loop: Header=BB1_7 Depth=1
	v_add_u32_e32 v0, s49, v0
	v_cmp_le_i32_e32 vcc, s38, v0
	s_or_b64 s[4:5], vcc, s[4:5]
	s_andn2_b64 exec, exec, s[4:5]
	s_cbranch_execz .LBB1_291
.LBB1_7:                                ; =>This Loop Header: Depth=1
                                        ;     Child Loop BB1_12 Depth 2
                                        ;     Child Loop BB1_29 Depth 2
	;; [unrolled: 1-line block ×5, first 2 shown]
	v_sub_u32_e32 v1, 0, v0
	v_max_i32_e32 v1, v0, v1
	v_mul_hi_u32 v2, v1, v28
	v_ashrrev_i32_e32 v4, 31, v0
	v_xor_b32_e32 v4, s50, v4
	v_mul_lo_u32 v3, v2, s47
	v_add_u32_e32 v5, 1, v2
	v_sub_u32_e32 v1, v1, v3
	v_cmp_le_u32_e32 vcc, s47, v1
	v_subrev_u32_e32 v3, s47, v1
	v_cndmask_b32_e32 v2, v2, v5, vcc
	v_cndmask_b32_e32 v1, v1, v3, vcc
	v_add_u32_e32 v3, 1, v2
	v_cmp_le_u32_e32 vcc, s47, v1
	v_cndmask_b32_e32 v1, v2, v3, vcc
	v_xor_b32_e32 v1, v1, v4
	v_sub_u32_e32 v1, v1, v4
	v_mul_lo_u32 v3, v1, s33
	v_mul_lo_u32 v1, v1, s11
	v_sub_u32_e32 v4, v0, v3
	v_mul_lo_u32 v11, v4, s13
	v_ashrrev_i32_e32 v2, 31, v1
	v_lshlrev_b64 v[7:8], 1, v[1:2]
	v_mul_lo_u32 v32, v3, s48
	v_ashrrev_i32_e32 v12, 31, v11
	v_add_co_u32_e32 v1, vcc, s41, v7
	v_lshlrev_b64 v[9:10], 1, v[11:12]
	v_addc_co_u32_e32 v2, vcc, v29, v8, vcc
	v_add_co_u32_e32 v12, vcc, v1, v9
	v_mul_lo_u32 v34, s48, v4
	v_addc_co_u32_e32 v13, vcc, v2, v10, vcc
	v_and_b32_e32 v5, 15, v12
	v_cmp_ne_u64_e32 vcc, 0, v[5:6]
	v_ashrrev_i32_e32 v33, 31, v32
	v_ashrrev_i32_e32 v35, 31, v34
	s_or_b64 s[0:1], s[8:9], vcc
	s_and_saveexec_b64 s[22:23], s[0:1]
	s_xor_b64 s[22:23], exec, s[22:23]
	s_cbranch_execz .LBB1_158
; %bb.8:                                ;   in Loop: Header=BB1_7 Depth=1
	v_sub_u32_e32 v1, 0, v12
	v_bfe_u32 v1, v1, 1, 3
	v_min_i32_e32 v14, s13, v1
	v_cmp_lt_i32_e32 vcc, 0, v14
	s_and_saveexec_b64 s[24:25], vcc
	s_cbranch_execz .LBB1_25
; %bb.9:                                ;   in Loop: Header=BB1_7 Depth=1
	v_add_co_u32_e32 v1, vcc, v32, v34
	v_addc_co_u32_e32 v2, vcc, v33, v35, vcc
	v_mov_b32_e32 v3, s52
	v_add_co_u32_e32 v1, vcc, s51, v1
	v_addc_co_u32_e32 v2, vcc, v3, v2, vcc
	v_mov_b32_e32 v3, v12
	s_mov_b64 s[26:27], 0
	v_mov_b32_e32 v4, v13
	v_mov_b32_e32 v18, v14
	s_branch .LBB1_12
.LBB1_10:                               ;   in Loop: Header=BB1_12 Depth=2
	s_or_b64 exec, exec, s[0:1]
.LBB1_11:                               ;   in Loop: Header=BB1_12 Depth=2
	s_or_b64 exec, exec, s[28:29]
	v_add_co_u32_e32 v3, vcc, 2, v3
	v_add_u32_e32 v18, -1, v18
	v_addc_co_u32_e32 v4, vcc, 0, v4, vcc
	v_cmp_eq_u32_e32 vcc, 0, v18
	global_store_byte v[1:2], v5, off
	s_or_b64 s[26:27], vcc, s[26:27]
	v_add_co_u32_e32 v1, vcc, 1, v1
	v_addc_co_u32_e32 v2, vcc, 0, v2, vcc
	s_andn2_b64 exec, exec, s[26:27]
	s_cbranch_execz .LBB1_25
.LBB1_12:                               ;   Parent Loop BB1_7 Depth=1
                                        ; =>  This Inner Loop Header: Depth=2
	global_load_ushort v5, v[3:4], off
	s_waitcnt vmcnt(0)
	v_lshlrev_b32_e32 v5, 16, v5
	v_div_scale_f32 v15, s[0:1], s14, s14, v5
	v_div_scale_f32 v16, vcc, v5, s14, v5
	v_rcp_f32_e32 v17, v15
	v_fma_f32 v19, -v15, v17, 1.0
	v_fmac_f32_e32 v17, v19, v17
	v_mul_f32_e32 v19, v16, v17
	v_fma_f32 v20, -v15, v19, v16
	v_fmac_f32_e32 v19, v20, v17
	v_fma_f32 v15, -v15, v19, v16
	v_div_fmas_f32 v15, v15, v17, v19
	v_div_fixup_f32 v19, v15, s14, v5
	v_and_b32_e32 v5, 0x7f800000, v19
	v_cmp_ne_u64_e32 vcc, s[16:17], v[5:6]
	v_mov_b32_e32 v5, 0x80
	s_and_saveexec_b64 s[28:29], vcc
	s_cbranch_execz .LBB1_11
; %bb.13:                               ;   in Loop: Header=BB1_12 Depth=2
	v_and_b32_e32 v5, 0x7fffffff, v19
	v_cmp_gt_u64_e32 vcc, s[18:19], v[5:6]
                                        ; implicit-def: $vgpr5
	s_and_saveexec_b64 s[0:1], vcc
	s_xor_b64 s[30:31], exec, s[0:1]
	s_cbranch_execz .LBB1_23
; %bb.14:                               ;   in Loop: Header=BB1_12 Depth=2
	v_cmp_ne_u32_e32 vcc, 0, v19
	v_mov_b32_e32 v5, 0
	s_and_saveexec_b64 s[34:35], vcc
	s_cbranch_execz .LBB1_22
; %bb.15:                               ;   in Loop: Header=BB1_12 Depth=2
	v_bfe_u32 v20, v19, 23, 8
	v_sub_u32_e32 v15, 0x78, v20
	v_cmp_gt_u32_e32 vcc, s53, v20
	v_cndmask_b32_e32 v15, 0, v15, vcc
	v_cmp_eq_u32_e32 vcc, 0, v20
	v_cndmask_b32_e32 v21, v15, v30, vcc
	v_and_b32_e32 v5, 0x7fffff, v19
	v_add_u32_e32 v15, 20, v21
	v_or_b32_e32 v17, 0x800000, v5
	v_lshlrev_b64 v[15:16], v15, -1
	v_cndmask_b32_e32 v5, v17, v5, vcc
	v_bfi_b32 v22, v15, 0, v5
	v_add_u32_e32 v15, 19, v21
	v_bfi_b32 v23, v16, 0, 0
	v_lshlrev_b64 v[24:25], v15, 1
	v_lshrrev_b64 v[15:16], v21, v[5:6]
	v_cmp_eq_u64_e64 s[0:1], v[22:23], v[24:25]
	v_mov_b32_e32 v17, v16
	v_mov_b32_e32 v16, v15
	s_and_saveexec_b64 s[36:37], s[0:1]
; %bb.16:                               ;   in Loop: Header=BB1_12 Depth=2
	v_bfe_u32 v5, v15, 20, 1
	v_add_co_u32_e64 v5, s[0:1], v15, v5
	v_add_co_u32_e64 v16, s[0:1], -1, v5
; %bb.17:                               ;   in Loop: Header=BB1_12 Depth=2
	s_or_b64 exec, exec, s[36:37]
	v_add_u32_e32 v5, 0xffffff81, v20
	v_cndmask_b32_e32 v5, v5, v31, vcc
	v_lshrrev_b32_e32 v17, 23, v15
	v_add3_u32 v21, v21, v5, v17
	v_add_u32_e32 v20, 7, v21
	v_and_b32_e32 v5, 0xfffff, v16
	v_add_u32_e32 v5, v5, v15
	v_cmp_ne_u32_e32 vcc, 0, v20
                                        ; implicit-def: $vgpr15_vgpr16
                                        ; implicit-def: $vgpr17
	s_and_saveexec_b64 s[0:1], vcc
	s_xor_b64 s[0:1], exec, s[0:1]
; %bb.18:                               ;   in Loop: Header=BB1_12 Depth=2
	v_cmp_lt_u64_e32 vcc, s[20:21], v[5:6]
	v_add_u32_e32 v15, 8, v21
	v_cndmask_b32_e32 v17, v20, v15, vcc
	v_cndmask_b32_e64 v15, 0, 1, vcc
	v_lshrrev_b64 v[15:16], v15, v[5:6]
; %bb.19:                               ;   in Loop: Header=BB1_12 Depth=2
	s_andn2_saveexec_b64 s[0:1], s[0:1]
; %bb.20:                               ;   in Loop: Header=BB1_12 Depth=2
	v_mov_b32_e32 v16, v6
	v_bfe_u32 v17, v5, 23, 1
	v_mov_b32_e32 v15, v5
; %bb.21:                               ;   in Loop: Header=BB1_12 Depth=2
	s_or_b64 exec, exec, s[0:1]
	v_lshrrev_b64 v[15:16], 20, v[15:16]
	v_cmp_gt_i32_e32 vcc, 16, v17
	v_cndmask_b32_e32 v16, 0, v16, vcc
	v_cndmask_b32_e32 v15, 7, v15, vcc
	v_and_b32_sdwa v5, v19, s54 dst_sel:DWORD dst_unused:UNUSED_PAD src0_sel:BYTE_3 src1_sel:DWORD
	v_min_i32_e32 v19, 15, v17
	v_cmp_eq_u64_e64 s[0:1], 0, v[15:16]
	v_cmp_eq_u32_e32 vcc, 0, v17
	v_lshl_or_b32 v5, v19, 3, v5
	v_and_or_b32 v5, v15, 7, v5
	s_and_b64 s[0:1], vcc, s[0:1]
	v_cndmask_b32_e64 v5, v5, 0, s[0:1]
.LBB1_22:                               ;   in Loop: Header=BB1_12 Depth=2
	s_or_b64 exec, exec, s[34:35]
                                        ; implicit-def: $vgpr19
.LBB1_23:                               ;   in Loop: Header=BB1_12 Depth=2
	s_andn2_saveexec_b64 s[0:1], s[30:31]
	s_cbranch_execz .LBB1_10
; %bb.24:                               ;   in Loop: Header=BB1_12 Depth=2
	v_or_b32_sdwa v5, v19, s55 dst_sel:DWORD dst_unused:UNUSED_PAD src0_sel:BYTE_3 src1_sel:DWORD
	s_branch .LBB1_10
.LBB1_25:                               ;   in Loop: Header=BB1_7 Depth=1
	s_or_b64 exec, exec, s[24:25]
	v_sub_u32_e32 v36, s13, v14
	v_ashrrev_i32_e32 v1, 31, v36
	v_lshrrev_b32_e32 v1, 29, v1
	v_add_u32_e32 v1, v36, v1
	v_ashrrev_i32_e32 v15, 31, v14
	v_ashrrev_i32_e32 v37, 3, v1
	v_cmp_lt_i32_e32 vcc, 7, v36
	s_and_saveexec_b64 s[24:25], vcc
	s_cbranch_execz .LBB1_140
; %bb.26:                               ;   in Loop: Header=BB1_7 Depth=1
	v_lshlrev_b64 v[1:2], 1, v[14:15]
	v_mov_b32_e32 v3, s52
	v_add_co_u32_e32 v12, vcc, v12, v1
	v_addc_co_u32_e32 v13, vcc, v13, v2, vcc
	v_add_co_u32_e32 v1, vcc, v14, v32
	v_addc_co_u32_e32 v2, vcc, v15, v33, vcc
	;; [unrolled: 2-line block ×4, first 2 shown]
	s_mov_b64 s[26:27], 0
	v_mov_b32_e32 v38, v37
	s_branch .LBB1_29
.LBB1_27:                               ;   in Loop: Header=BB1_29 Depth=2
	s_or_b64 exec, exec, s[0:1]
.LBB1_28:                               ;   in Loop: Header=BB1_29 Depth=2
	s_or_b64 exec, exec, s[28:29]
	v_lshlrev_b32_e32 v3, 16, v25
	v_lshlrev_b32_e32 v2, 24, v2
	v_and_b32_e32 v3, 0xff0000, v3
	v_lshlrev_b32_e32 v1, 8, v1
	v_or_b32_e32 v2, v2, v3
	v_and_b32_e32 v1, 0xff00, v1
	v_and_b32_e32 v3, 0xff, v24
	v_or3_b32 v2, v2, v1, v3
	v_lshlrev_b32_e32 v1, 16, v23
	v_lshlrev_b32_e32 v3, 8, v18
	v_perm_b32 v1, v21, v1, s57
	v_and_or_b32 v1, v3, s56, v1
	v_or_b32_sdwa v1, v1, v20 dst_sel:DWORD dst_unused:UNUSED_PAD src0_sel:DWORD src1_sel:BYTE_0
	global_store_dwordx2 v[16:17], v[1:2], off
	v_add_co_u32_e32 v16, vcc, 8, v16
	v_add_u32_e32 v38, -1, v38
	v_addc_co_u32_e32 v17, vcc, 0, v17, vcc
	v_cmp_eq_u32_e32 vcc, 0, v38
	s_or_b64 s[26:27], vcc, s[26:27]
	v_add_co_u32_e32 v12, vcc, 16, v12
	v_addc_co_u32_e32 v13, vcc, 0, v13, vcc
	s_andn2_b64 exec, exec, s[26:27]
	s_cbranch_execz .LBB1_140
.LBB1_29:                               ;   Parent Loop BB1_7 Depth=1
                                        ; =>  This Inner Loop Header: Depth=2
	global_load_dwordx4 v[1:4], v[12:13], off
	s_waitcnt vmcnt(0)
	v_lshlrev_b32_e32 v5, 16, v1
	v_div_scale_f32 v18, s[0:1], s14, s14, v5
	v_div_scale_f32 v19, vcc, v5, s14, v5
	v_rcp_f32_e32 v20, v18
	v_fma_f32 v21, -v18, v20, 1.0
	v_fmac_f32_e32 v20, v21, v20
	v_mul_f32_e32 v21, v19, v20
	v_fma_f32 v22, -v18, v21, v19
	v_fmac_f32_e32 v21, v22, v20
	v_fma_f32 v18, -v18, v21, v19
	v_div_fmas_f32 v20, v18, v20, v21
	v_mov_b32_e32 v18, 0x80
	v_mov_b32_e32 v19, 0
	v_div_fixup_f32 v22, v20, s14, v5
	v_and_b32_e32 v5, 0x7f800000, v22
	v_cmp_ne_u64_e32 vcc, s[16:17], v[5:6]
	v_mov_b32_e32 v20, 0x80
	v_mov_b32_e32 v21, 0
	s_and_saveexec_b64 s[28:29], vcc
	s_cbranch_execz .LBB1_43
; %bb.30:                               ;   in Loop: Header=BB1_29 Depth=2
	v_and_b32_e32 v5, 0x7fffffff, v22
	v_cmp_gt_u64_e32 vcc, s[18:19], v[5:6]
                                        ; implicit-def: $vgpr20_vgpr21
	s_and_saveexec_b64 s[0:1], vcc
	s_xor_b64 s[30:31], exec, s[0:1]
	s_cbranch_execz .LBB1_40
; %bb.31:                               ;   in Loop: Header=BB1_29 Depth=2
	v_mov_b32_e32 v20, 0
	v_cmp_ne_u32_e32 vcc, 0, v22
	v_mov_b32_e32 v21, 0
	s_and_saveexec_b64 s[34:35], vcc
	s_cbranch_execz .LBB1_39
; %bb.32:                               ;   in Loop: Header=BB1_29 Depth=2
	v_bfe_u32 v23, v22, 23, 8
	v_sub_u32_e32 v19, 0x78, v23
	v_cmp_gt_u32_e32 vcc, s53, v23
	v_cndmask_b32_e32 v19, 0, v19, vcc
	v_cmp_eq_u32_e32 vcc, 0, v23
	v_cndmask_b32_e32 v24, v19, v30, vcc
	v_and_b32_e32 v5, 0x7fffff, v22
	v_add_u32_e32 v19, 20, v24
	v_or_b32_e32 v21, 0x800000, v5
	v_lshlrev_b64 v[19:20], v19, -1
	v_cndmask_b32_e32 v5, v21, v5, vcc
	v_bfi_b32 v25, v19, 0, v5
	v_add_u32_e32 v19, 19, v24
	v_bfi_b32 v26, v20, 0, 0
	v_lshlrev_b64 v[39:40], v19, 1
	v_lshrrev_b64 v[19:20], v24, v[5:6]
	v_cmp_eq_u64_e64 s[0:1], v[25:26], v[39:40]
	v_mov_b32_e32 v21, v20
	v_mov_b32_e32 v20, v19
	s_and_saveexec_b64 s[36:37], s[0:1]
; %bb.33:                               ;   in Loop: Header=BB1_29 Depth=2
	v_bfe_u32 v5, v19, 20, 1
	v_add_co_u32_e64 v5, s[0:1], v19, v5
	v_add_co_u32_e64 v20, s[0:1], -1, v5
; %bb.34:                               ;   in Loop: Header=BB1_29 Depth=2
	s_or_b64 exec, exec, s[36:37]
	v_add_u32_e32 v5, 0xffffff81, v23
	v_cndmask_b32_e32 v5, v5, v31, vcc
	v_lshrrev_b32_e32 v21, 23, v19
	v_add3_u32 v24, v24, v5, v21
	v_add_u32_e32 v23, 7, v24
	v_and_b32_e32 v5, 0xfffff, v20
	v_add_u32_e32 v5, v5, v19
	v_cmp_ne_u32_e32 vcc, 0, v23
                                        ; implicit-def: $vgpr19_vgpr20
                                        ; implicit-def: $vgpr21
	s_and_saveexec_b64 s[0:1], vcc
	s_xor_b64 s[0:1], exec, s[0:1]
; %bb.35:                               ;   in Loop: Header=BB1_29 Depth=2
	v_cmp_lt_u64_e32 vcc, s[20:21], v[5:6]
	v_add_u32_e32 v19, 8, v24
	v_cndmask_b32_e32 v21, v23, v19, vcc
	v_cndmask_b32_e64 v19, 0, 1, vcc
	v_lshrrev_b64 v[19:20], v19, v[5:6]
; %bb.36:                               ;   in Loop: Header=BB1_29 Depth=2
	s_andn2_saveexec_b64 s[0:1], s[0:1]
; %bb.37:                               ;   in Loop: Header=BB1_29 Depth=2
	v_mov_b32_e32 v20, v6
	v_bfe_u32 v21, v5, 23, 1
	v_mov_b32_e32 v19, v5
; %bb.38:                               ;   in Loop: Header=BB1_29 Depth=2
	s_or_b64 exec, exec, s[0:1]
	v_lshrrev_b64 v[19:20], 20, v[19:20]
	v_cmp_gt_i32_e32 vcc, 16, v21
	v_cndmask_b32_e32 v20, 0, v20, vcc
	v_cndmask_b32_e32 v19, 7, v19, vcc
	v_and_b32_sdwa v5, v22, s54 dst_sel:DWORD dst_unused:UNUSED_PAD src0_sel:BYTE_3 src1_sel:DWORD
	v_min_i32_e32 v22, 15, v21
	v_cmp_eq_u64_e64 s[0:1], 0, v[19:20]
	v_cmp_eq_u32_e32 vcc, 0, v21
	v_lshl_or_b32 v5, v22, 3, v5
	v_and_or_b32 v5, v19, 7, v5
	s_and_b64 s[0:1], vcc, s[0:1]
	v_cndmask_b32_e64 v20, v5, 0, s[0:1]
.LBB1_39:                               ;   in Loop: Header=BB1_29 Depth=2
	s_or_b64 exec, exec, s[34:35]
                                        ; implicit-def: $vgpr22
.LBB1_40:                               ;   in Loop: Header=BB1_29 Depth=2
	s_andn2_saveexec_b64 s[0:1], s[30:31]
; %bb.41:                               ;   in Loop: Header=BB1_29 Depth=2
	v_or_b32_sdwa v20, v22, s55 dst_sel:DWORD dst_unused:UNUSED_PAD src0_sel:BYTE_3 src1_sel:DWORD
; %bb.42:                               ;   in Loop: Header=BB1_29 Depth=2
	s_or_b64 exec, exec, s[0:1]
.LBB1_43:                               ;   in Loop: Header=BB1_29 Depth=2
	s_or_b64 exec, exec, s[28:29]
	v_and_b32_e32 v1, 0xffff0000, v1
	v_div_scale_f32 v5, s[0:1], s14, s14, v1
	v_div_scale_f32 v19, vcc, v1, s14, v1
	v_rcp_f32_e32 v21, v5
	v_fma_f32 v22, -v5, v21, 1.0
	v_fmac_f32_e32 v21, v22, v21
	v_mul_f32_e32 v22, v19, v21
	v_fma_f32 v23, -v5, v22, v19
	v_fmac_f32_e32 v22, v23, v21
	v_fma_f32 v5, -v5, v22, v19
	v_div_fmas_f32 v5, v5, v21, v22
	v_div_fixup_f32 v1, v5, s14, v1
	v_and_b32_e32 v5, 0x7f800000, v1
	v_cmp_ne_u64_e32 vcc, s[16:17], v[5:6]
	s_and_saveexec_b64 s[28:29], vcc
	s_cbranch_execz .LBB1_57
; %bb.44:                               ;   in Loop: Header=BB1_29 Depth=2
	v_and_b32_e32 v5, 0x7fffffff, v1
	v_cmp_gt_u64_e32 vcc, s[18:19], v[5:6]
                                        ; implicit-def: $vgpr18_vgpr19
	s_and_saveexec_b64 s[0:1], vcc
	s_xor_b64 s[30:31], exec, s[0:1]
	s_cbranch_execz .LBB1_54
; %bb.45:                               ;   in Loop: Header=BB1_29 Depth=2
	v_mov_b32_e32 v18, 0
	v_cmp_ne_u32_e32 vcc, 0, v1
	v_mov_b32_e32 v19, 0
	s_and_saveexec_b64 s[34:35], vcc
	s_cbranch_execz .LBB1_53
; %bb.46:                               ;   in Loop: Header=BB1_29 Depth=2
	v_bfe_u32 v23, v1, 23, 8
	v_sub_u32_e32 v18, 0x78, v23
	v_cmp_gt_u32_e32 vcc, s53, v23
	v_cndmask_b32_e32 v18, 0, v18, vcc
	v_cmp_eq_u32_e32 vcc, 0, v23
	v_cndmask_b32_e32 v24, v18, v30, vcc
	v_and_b32_e32 v5, 0x7fffff, v1
	v_add_u32_e32 v18, 20, v24
	v_or_b32_e32 v21, 0x800000, v5
	v_lshlrev_b64 v[18:19], v18, -1
	v_cndmask_b32_e32 v5, v21, v5, vcc
	v_bfi_b32 v21, v18, 0, v5
	v_add_u32_e32 v18, 19, v24
	v_bfi_b32 v22, v19, 0, 0
	v_lshlrev_b64 v[25:26], v18, 1
	v_lshrrev_b64 v[18:19], v24, v[5:6]
	v_cmp_eq_u64_e64 s[0:1], v[21:22], v[25:26]
	v_mov_b32_e32 v22, v19
	v_mov_b32_e32 v21, v18
	s_and_saveexec_b64 s[36:37], s[0:1]
; %bb.47:                               ;   in Loop: Header=BB1_29 Depth=2
	v_bfe_u32 v5, v18, 20, 1
	v_add_co_u32_e64 v5, s[0:1], v18, v5
	v_add_co_u32_e64 v21, s[0:1], -1, v5
; %bb.48:                               ;   in Loop: Header=BB1_29 Depth=2
	s_or_b64 exec, exec, s[36:37]
	v_add_u32_e32 v5, 0xffffff81, v23
	v_cndmask_b32_e32 v5, v5, v31, vcc
	v_lshrrev_b32_e32 v19, 23, v18
	v_add3_u32 v23, v24, v5, v19
	v_add_u32_e32 v22, 7, v23
	v_and_b32_e32 v5, 0xfffff, v21
	v_add_u32_e32 v5, v5, v18
	v_cmp_ne_u32_e32 vcc, 0, v22
                                        ; implicit-def: $vgpr18_vgpr19
                                        ; implicit-def: $vgpr21
	s_and_saveexec_b64 s[0:1], vcc
	s_xor_b64 s[0:1], exec, s[0:1]
; %bb.49:                               ;   in Loop: Header=BB1_29 Depth=2
	v_cmp_lt_u64_e32 vcc, s[20:21], v[5:6]
	v_add_u32_e32 v18, 8, v23
	v_cndmask_b32_e32 v21, v22, v18, vcc
	v_cndmask_b32_e64 v18, 0, 1, vcc
	v_lshrrev_b64 v[18:19], v18, v[5:6]
; %bb.50:                               ;   in Loop: Header=BB1_29 Depth=2
	s_andn2_saveexec_b64 s[0:1], s[0:1]
; %bb.51:                               ;   in Loop: Header=BB1_29 Depth=2
	v_mov_b32_e32 v19, v6
	v_bfe_u32 v21, v5, 23, 1
	v_mov_b32_e32 v18, v5
; %bb.52:                               ;   in Loop: Header=BB1_29 Depth=2
	s_or_b64 exec, exec, s[0:1]
	v_lshrrev_b64 v[18:19], 20, v[18:19]
	v_cmp_gt_i32_e32 vcc, 16, v21
	v_cndmask_b32_e32 v19, 0, v19, vcc
	v_cndmask_b32_e32 v18, 7, v18, vcc
	v_and_b32_sdwa v1, v1, s54 dst_sel:DWORD dst_unused:UNUSED_PAD src0_sel:BYTE_3 src1_sel:DWORD
	v_min_i32_e32 v5, 15, v21
	v_cmp_eq_u64_e64 s[0:1], 0, v[18:19]
	v_cmp_eq_u32_e32 vcc, 0, v21
	v_lshl_or_b32 v1, v5, 3, v1
	v_and_or_b32 v1, v18, 7, v1
	s_and_b64 s[0:1], vcc, s[0:1]
	v_cndmask_b32_e64 v18, v1, 0, s[0:1]
.LBB1_53:                               ;   in Loop: Header=BB1_29 Depth=2
	s_or_b64 exec, exec, s[34:35]
                                        ; implicit-def: $vgpr1
.LBB1_54:                               ;   in Loop: Header=BB1_29 Depth=2
	s_andn2_saveexec_b64 s[0:1], s[30:31]
; %bb.55:                               ;   in Loop: Header=BB1_29 Depth=2
	v_or_b32_sdwa v18, v1, s55 dst_sel:DWORD dst_unused:UNUSED_PAD src0_sel:BYTE_3 src1_sel:DWORD
; %bb.56:                               ;   in Loop: Header=BB1_29 Depth=2
	s_or_b64 exec, exec, s[0:1]
.LBB1_57:                               ;   in Loop: Header=BB1_29 Depth=2
	s_or_b64 exec, exec, s[28:29]
	v_lshlrev_b32_e32 v1, 16, v2
	v_div_scale_f32 v5, s[0:1], s14, s14, v1
	v_div_scale_f32 v19, vcc, v1, s14, v1
	v_rcp_f32_e32 v21, v5
	v_fma_f32 v22, -v5, v21, 1.0
	v_fmac_f32_e32 v21, v22, v21
	v_mul_f32_e32 v22, v19, v21
	v_fma_f32 v23, -v5, v22, v19
	v_fmac_f32_e32 v22, v23, v21
	v_fma_f32 v5, -v5, v22, v19
	v_div_fmas_f32 v5, v5, v21, v22
	v_mov_b32_e32 v21, 0x80
	v_mov_b32_e32 v23, 0x80
	;; [unrolled: 1-line block ×4, first 2 shown]
	v_div_fixup_f32 v1, v5, s14, v1
	v_and_b32_e32 v5, 0x7f800000, v1
	v_cmp_ne_u64_e32 vcc, s[16:17], v[5:6]
	s_and_saveexec_b64 s[28:29], vcc
	s_cbranch_execz .LBB1_71
; %bb.58:                               ;   in Loop: Header=BB1_29 Depth=2
	v_and_b32_e32 v5, 0x7fffffff, v1
	v_cmp_gt_u64_e32 vcc, s[18:19], v[5:6]
                                        ; implicit-def: $vgpr23_vgpr24
	s_and_saveexec_b64 s[0:1], vcc
	s_xor_b64 s[30:31], exec, s[0:1]
	s_cbranch_execz .LBB1_68
; %bb.59:                               ;   in Loop: Header=BB1_29 Depth=2
	v_mov_b32_e32 v23, 0
	v_cmp_ne_u32_e32 vcc, 0, v1
	v_mov_b32_e32 v24, 0
	s_and_saveexec_b64 s[34:35], vcc
	s_cbranch_execz .LBB1_67
; %bb.60:                               ;   in Loop: Header=BB1_29 Depth=2
	v_bfe_u32 v19, v1, 23, 8
	v_sub_u32_e32 v22, 0x78, v19
	v_cmp_gt_u32_e32 vcc, s53, v19
	v_cndmask_b32_e32 v22, 0, v22, vcc
	v_cmp_eq_u32_e32 vcc, 0, v19
	v_cndmask_b32_e32 v25, v22, v30, vcc
	v_and_b32_e32 v5, 0x7fffff, v1
	v_add_u32_e32 v22, 20, v25
	v_or_b32_e32 v24, 0x800000, v5
	v_lshlrev_b64 v[22:23], v22, -1
	v_cndmask_b32_e32 v5, v24, v5, vcc
	v_bfi_b32 v26, v22, 0, v5
	v_add_u32_e32 v22, 19, v25
	v_bfi_b32 v27, v23, 0, 0
	v_lshlrev_b64 v[39:40], v22, 1
	v_lshrrev_b64 v[22:23], v25, v[5:6]
	v_cmp_eq_u64_e64 s[0:1], v[26:27], v[39:40]
	v_mov_b32_e32 v24, v23
	v_mov_b32_e32 v23, v22
	s_and_saveexec_b64 s[36:37], s[0:1]
; %bb.61:                               ;   in Loop: Header=BB1_29 Depth=2
	v_bfe_u32 v5, v22, 20, 1
	v_add_co_u32_e64 v5, s[0:1], v22, v5
	v_add_co_u32_e64 v23, s[0:1], -1, v5
; %bb.62:                               ;   in Loop: Header=BB1_29 Depth=2
	s_or_b64 exec, exec, s[36:37]
	v_add_u32_e32 v5, 0xffffff81, v19
	v_cndmask_b32_e32 v5, v5, v31, vcc
	v_lshrrev_b32_e32 v19, 23, v22
	v_add3_u32 v25, v25, v5, v19
	v_add_u32_e32 v24, 7, v25
	v_and_b32_e32 v5, 0xfffff, v23
	v_add_u32_e32 v5, v5, v22
	v_cmp_ne_u32_e32 vcc, 0, v24
                                        ; implicit-def: $vgpr22_vgpr23
                                        ; implicit-def: $vgpr19
	s_and_saveexec_b64 s[0:1], vcc
	s_xor_b64 s[0:1], exec, s[0:1]
; %bb.63:                               ;   in Loop: Header=BB1_29 Depth=2
	v_cmp_lt_u64_e32 vcc, s[20:21], v[5:6]
	v_add_u32_e32 v19, 8, v25
	v_cndmask_b32_e64 v22, 0, 1, vcc
	v_lshrrev_b64 v[22:23], v22, v[5:6]
	v_cndmask_b32_e32 v19, v24, v19, vcc
; %bb.64:                               ;   in Loop: Header=BB1_29 Depth=2
	s_andn2_saveexec_b64 s[0:1], s[0:1]
; %bb.65:                               ;   in Loop: Header=BB1_29 Depth=2
	v_mov_b32_e32 v23, v6
	v_bfe_u32 v19, v5, 23, 1
	v_mov_b32_e32 v22, v5
; %bb.66:                               ;   in Loop: Header=BB1_29 Depth=2
	s_or_b64 exec, exec, s[0:1]
	v_lshrrev_b64 v[22:23], 20, v[22:23]
	v_cmp_gt_i32_e32 vcc, 16, v19
	v_cndmask_b32_e32 v23, 0, v23, vcc
	v_cndmask_b32_e32 v22, 7, v22, vcc
	v_and_b32_sdwa v1, v1, s54 dst_sel:DWORD dst_unused:UNUSED_PAD src0_sel:BYTE_3 src1_sel:DWORD
	v_min_i32_e32 v5, 15, v19
	v_cmp_eq_u64_e64 s[0:1], 0, v[22:23]
	v_cmp_eq_u32_e32 vcc, 0, v19
	v_lshl_or_b32 v1, v5, 3, v1
	v_and_or_b32 v1, v22, 7, v1
	s_and_b64 s[0:1], vcc, s[0:1]
	v_cndmask_b32_e64 v23, v1, 0, s[0:1]
.LBB1_67:                               ;   in Loop: Header=BB1_29 Depth=2
	s_or_b64 exec, exec, s[34:35]
                                        ; implicit-def: $vgpr1
.LBB1_68:                               ;   in Loop: Header=BB1_29 Depth=2
	s_andn2_saveexec_b64 s[0:1], s[30:31]
; %bb.69:                               ;   in Loop: Header=BB1_29 Depth=2
	v_or_b32_sdwa v23, v1, s55 dst_sel:DWORD dst_unused:UNUSED_PAD src0_sel:BYTE_3 src1_sel:DWORD
; %bb.70:                               ;   in Loop: Header=BB1_29 Depth=2
	s_or_b64 exec, exec, s[0:1]
.LBB1_71:                               ;   in Loop: Header=BB1_29 Depth=2
	s_or_b64 exec, exec, s[28:29]
	v_and_b32_e32 v1, 0xffff0000, v2
	v_div_scale_f32 v2, s[0:1], s14, s14, v1
	v_div_scale_f32 v5, vcc, v1, s14, v1
	v_rcp_f32_e32 v19, v2
	v_fma_f32 v22, -v2, v19, 1.0
	v_fmac_f32_e32 v19, v22, v19
	v_mul_f32_e32 v22, v5, v19
	v_fma_f32 v24, -v2, v22, v5
	v_fmac_f32_e32 v22, v24, v19
	v_fma_f32 v2, -v2, v22, v5
	v_div_fmas_f32 v2, v2, v19, v22
	v_div_fixup_f32 v19, v2, s14, v1
	v_and_b32_e32 v5, 0x7f800000, v19
	v_cmp_ne_u64_e32 vcc, s[16:17], v[5:6]
	s_and_saveexec_b64 s[28:29], vcc
	s_cbranch_execz .LBB1_85
; %bb.72:                               ;   in Loop: Header=BB1_29 Depth=2
	v_and_b32_e32 v5, 0x7fffffff, v19
	v_cmp_gt_u64_e32 vcc, s[18:19], v[5:6]
                                        ; implicit-def: $vgpr21_vgpr22
	s_and_saveexec_b64 s[0:1], vcc
	s_xor_b64 s[30:31], exec, s[0:1]
	s_cbranch_execz .LBB1_82
; %bb.73:                               ;   in Loop: Header=BB1_29 Depth=2
	v_mov_b32_e32 v21, 0
	v_cmp_ne_u32_e32 vcc, 0, v19
	v_mov_b32_e32 v22, 0
	s_and_saveexec_b64 s[34:35], vcc
	s_cbranch_execz .LBB1_81
; %bb.74:                               ;   in Loop: Header=BB1_29 Depth=2
	v_bfe_u32 v24, v19, 23, 8
	v_sub_u32_e32 v1, 0x78, v24
	v_cmp_gt_u32_e32 vcc, s53, v24
	v_cndmask_b32_e32 v1, 0, v1, vcc
	v_cmp_eq_u32_e32 vcc, 0, v24
	v_cndmask_b32_e32 v25, v1, v30, vcc
	v_and_b32_e32 v5, 0x7fffff, v19
	v_add_u32_e32 v1, 20, v25
	v_or_b32_e32 v21, 0x800000, v5
	v_lshlrev_b64 v[1:2], v1, -1
	v_cndmask_b32_e32 v5, v21, v5, vcc
	v_bfi_b32 v21, v1, 0, v5
	v_add_u32_e32 v1, 19, v25
	v_bfi_b32 v22, v2, 0, 0
	v_lshlrev_b64 v[26:27], v1, 1
	v_lshrrev_b64 v[1:2], v25, v[5:6]
	v_cmp_eq_u64_e64 s[0:1], v[21:22], v[26:27]
	v_mov_b32_e32 v22, v2
	v_mov_b32_e32 v21, v1
	s_and_saveexec_b64 s[36:37], s[0:1]
; %bb.75:                               ;   in Loop: Header=BB1_29 Depth=2
	v_bfe_u32 v2, v1, 20, 1
	v_add_co_u32_e64 v2, s[0:1], v1, v2
	v_add_co_u32_e64 v21, s[0:1], -1, v2
; %bb.76:                               ;   in Loop: Header=BB1_29 Depth=2
	s_or_b64 exec, exec, s[36:37]
	v_add_u32_e32 v2, 0xffffff81, v24
	v_cndmask_b32_e32 v2, v2, v31, vcc
	v_lshrrev_b32_e32 v5, 23, v1
	v_add3_u32 v24, v25, v2, v5
	v_add_u32_e32 v22, 7, v24
	v_and_b32_e32 v2, 0xfffff, v21
	v_add_u32_e32 v5, v2, v1
	v_cmp_ne_u32_e32 vcc, 0, v22
                                        ; implicit-def: $vgpr1_vgpr2
                                        ; implicit-def: $vgpr21
	s_and_saveexec_b64 s[0:1], vcc
	s_xor_b64 s[0:1], exec, s[0:1]
; %bb.77:                               ;   in Loop: Header=BB1_29 Depth=2
	v_cmp_lt_u64_e32 vcc, s[20:21], v[5:6]
	v_add_u32_e32 v1, 8, v24
	v_cndmask_b32_e32 v21, v22, v1, vcc
	v_cndmask_b32_e64 v1, 0, 1, vcc
	v_lshrrev_b64 v[1:2], v1, v[5:6]
; %bb.78:                               ;   in Loop: Header=BB1_29 Depth=2
	s_andn2_saveexec_b64 s[0:1], s[0:1]
; %bb.79:                               ;   in Loop: Header=BB1_29 Depth=2
	v_mov_b32_e32 v1, v5
	v_bfe_u32 v21, v5, 23, 1
	v_mov_b32_e32 v2, v6
; %bb.80:                               ;   in Loop: Header=BB1_29 Depth=2
	s_or_b64 exec, exec, s[0:1]
	v_lshrrev_b64 v[1:2], 20, v[1:2]
	v_cmp_gt_i32_e32 vcc, 16, v21
	v_cndmask_b32_e32 v2, 0, v2, vcc
	v_cndmask_b32_e32 v1, 7, v1, vcc
	v_and_b32_sdwa v5, v19, s54 dst_sel:DWORD dst_unused:UNUSED_PAD src0_sel:BYTE_3 src1_sel:DWORD
	v_min_i32_e32 v19, 15, v21
	v_cmp_eq_u64_e64 s[0:1], 0, v[1:2]
	v_cmp_eq_u32_e32 vcc, 0, v21
	v_lshl_or_b32 v2, v19, 3, v5
	v_and_or_b32 v1, v1, 7, v2
	s_and_b64 s[0:1], vcc, s[0:1]
	v_cndmask_b32_e64 v21, v1, 0, s[0:1]
.LBB1_81:                               ;   in Loop: Header=BB1_29 Depth=2
	s_or_b64 exec, exec, s[34:35]
                                        ; implicit-def: $vgpr19
.LBB1_82:                               ;   in Loop: Header=BB1_29 Depth=2
	s_andn2_saveexec_b64 s[0:1], s[30:31]
; %bb.83:                               ;   in Loop: Header=BB1_29 Depth=2
	v_or_b32_sdwa v21, v19, s55 dst_sel:DWORD dst_unused:UNUSED_PAD src0_sel:BYTE_3 src1_sel:DWORD
; %bb.84:                               ;   in Loop: Header=BB1_29 Depth=2
	s_or_b64 exec, exec, s[0:1]
.LBB1_85:                               ;   in Loop: Header=BB1_29 Depth=2
	s_or_b64 exec, exec, s[28:29]
	v_lshlrev_b32_e32 v5, 16, v3
	v_div_scale_f32 v1, s[0:1], s14, s14, v5
	v_div_scale_f32 v2, vcc, v5, s14, v5
	v_rcp_f32_e32 v19, v1
	v_fma_f32 v22, -v1, v19, 1.0
	v_fmac_f32_e32 v19, v22, v19
	v_mul_f32_e32 v22, v2, v19
	v_fma_f32 v24, -v1, v22, v2
	v_fmac_f32_e32 v22, v24, v19
	v_fma_f32 v1, -v1, v22, v2
	v_div_fmas_f32 v19, v1, v19, v22
	v_mov_b32_e32 v1, 0x80
	v_mov_b32_e32 v2, 0
	;; [unrolled: 1-line block ×4, first 2 shown]
	v_div_fixup_f32 v2, v19, s14, v5
	v_and_b32_e32 v5, 0x7f800000, v2
	v_cmp_ne_u64_e32 vcc, s[16:17], v[5:6]
	s_and_saveexec_b64 s[28:29], vcc
	s_cbranch_execz .LBB1_99
; %bb.86:                               ;   in Loop: Header=BB1_29 Depth=2
	v_and_b32_e32 v5, 0x7fffffff, v2
	v_cmp_gt_u64_e32 vcc, s[18:19], v[5:6]
                                        ; implicit-def: $vgpr24_vgpr25
	s_and_saveexec_b64 s[0:1], vcc
	s_xor_b64 s[30:31], exec, s[0:1]
	s_cbranch_execz .LBB1_96
; %bb.87:                               ;   in Loop: Header=BB1_29 Depth=2
	v_mov_b32_e32 v24, 0
	v_cmp_ne_u32_e32 vcc, 0, v2
	v_mov_b32_e32 v25, 0
	s_and_saveexec_b64 s[34:35], vcc
	s_cbranch_execz .LBB1_95
; %bb.88:                               ;   in Loop: Header=BB1_29 Depth=2
	v_bfe_u32 v19, v2, 23, 8
	v_cmp_gt_u32_e64 s[0:1], s53, v19
	v_sub_u32_e32 v22, 0x78, v19
	v_and_b32_e32 v5, 0x7fffff, v2
	v_cmp_eq_u32_e32 vcc, 0, v19
	v_cndmask_b32_e64 v22, 0, v22, s[0:1]
	v_or_b32_e32 v24, 0x800000, v5
	v_cndmask_b32_e32 v22, v22, v30, vcc
	v_cndmask_b32_e32 v5, v24, v5, vcc
	v_add_u32_e32 v24, 20, v22
	v_lshlrev_b64 v[24:25], v24, -1
	v_add_u32_e32 v26, 19, v22
	v_lshlrev_b64 v[26:27], v26, 1
	v_bfi_b32 v25, v25, 0, 0
	v_bfi_b32 v24, v24, 0, v5
	v_cmp_eq_u64_e64 s[0:1], v[24:25], v[26:27]
	v_lshrrev_b64 v[24:25], v22, v[5:6]
	v_mov_b32_e32 v26, v25
	v_mov_b32_e32 v25, v24
	s_and_saveexec_b64 s[36:37], s[0:1]
; %bb.89:                               ;   in Loop: Header=BB1_29 Depth=2
	v_bfe_u32 v5, v24, 20, 1
	v_add_co_u32_e64 v5, s[0:1], v24, v5
	v_add_co_u32_e64 v25, s[0:1], -1, v5
; %bb.90:                               ;   in Loop: Header=BB1_29 Depth=2
	s_or_b64 exec, exec, s[36:37]
	v_add_u32_e32 v5, 0xffffff81, v19
	v_cndmask_b32_e32 v5, v5, v31, vcc
	v_lshrrev_b32_e32 v19, 23, v24
	v_add3_u32 v26, v22, v5, v19
	v_add_u32_e32 v22, 7, v26
	v_and_b32_e32 v5, 0xfffff, v25
	v_add_u32_e32 v5, v5, v24
	v_cmp_ne_u32_e32 vcc, 0, v22
                                        ; implicit-def: $vgpr24_vgpr25
                                        ; implicit-def: $vgpr19
	s_and_saveexec_b64 s[0:1], vcc
	s_xor_b64 s[0:1], exec, s[0:1]
; %bb.91:                               ;   in Loop: Header=BB1_29 Depth=2
	v_cmp_lt_u64_e32 vcc, s[20:21], v[5:6]
	v_add_u32_e32 v19, 8, v26
	v_cndmask_b32_e32 v19, v22, v19, vcc
	v_cndmask_b32_e64 v22, 0, 1, vcc
	v_lshrrev_b64 v[24:25], v22, v[5:6]
; %bb.92:                               ;   in Loop: Header=BB1_29 Depth=2
	s_andn2_saveexec_b64 s[0:1], s[0:1]
; %bb.93:                               ;   in Loop: Header=BB1_29 Depth=2
	v_mov_b32_e32 v25, v6
	v_bfe_u32 v19, v5, 23, 1
	v_mov_b32_e32 v24, v5
; %bb.94:                               ;   in Loop: Header=BB1_29 Depth=2
	s_or_b64 exec, exec, s[0:1]
	v_lshrrev_b64 v[24:25], 20, v[24:25]
	v_cmp_gt_i32_e32 vcc, 16, v19
	v_cndmask_b32_e32 v25, 0, v25, vcc
	v_cndmask_b32_e32 v24, 7, v24, vcc
	v_and_b32_sdwa v2, v2, s54 dst_sel:DWORD dst_unused:UNUSED_PAD src0_sel:BYTE_3 src1_sel:DWORD
	v_min_i32_e32 v5, 15, v19
	v_cmp_eq_u64_e64 s[0:1], 0, v[24:25]
	v_cmp_eq_u32_e32 vcc, 0, v19
	v_lshl_or_b32 v2, v5, 3, v2
	v_and_or_b32 v2, v24, 7, v2
	s_and_b64 s[0:1], vcc, s[0:1]
	v_cndmask_b32_e64 v24, v2, 0, s[0:1]
.LBB1_95:                               ;   in Loop: Header=BB1_29 Depth=2
	s_or_b64 exec, exec, s[34:35]
                                        ; implicit-def: $vgpr2
.LBB1_96:                               ;   in Loop: Header=BB1_29 Depth=2
	s_andn2_saveexec_b64 s[0:1], s[30:31]
; %bb.97:                               ;   in Loop: Header=BB1_29 Depth=2
	v_or_b32_sdwa v24, v2, s55 dst_sel:DWORD dst_unused:UNUSED_PAD src0_sel:BYTE_3 src1_sel:DWORD
; %bb.98:                               ;   in Loop: Header=BB1_29 Depth=2
	s_or_b64 exec, exec, s[0:1]
.LBB1_99:                               ;   in Loop: Header=BB1_29 Depth=2
	s_or_b64 exec, exec, s[28:29]
	v_and_b32_e32 v2, 0xffff0000, v3
	v_div_scale_f32 v3, s[0:1], s14, s14, v2
	v_div_scale_f32 v5, vcc, v2, s14, v2
	v_rcp_f32_e32 v19, v3
	v_fma_f32 v22, -v3, v19, 1.0
	v_fmac_f32_e32 v19, v22, v19
	v_mul_f32_e32 v22, v5, v19
	v_fma_f32 v25, -v3, v22, v5
	v_fmac_f32_e32 v22, v25, v19
	v_fma_f32 v3, -v3, v22, v5
	v_div_fmas_f32 v3, v3, v19, v22
	v_div_fixup_f32 v19, v3, s14, v2
	v_and_b32_e32 v5, 0x7f800000, v19
	v_cmp_ne_u64_e32 vcc, s[16:17], v[5:6]
	s_and_saveexec_b64 s[28:29], vcc
	s_cbranch_execz .LBB1_113
; %bb.100:                              ;   in Loop: Header=BB1_29 Depth=2
	v_and_b32_e32 v5, 0x7fffffff, v19
	v_cmp_gt_u64_e32 vcc, s[18:19], v[5:6]
                                        ; implicit-def: $vgpr1_vgpr2
	s_and_saveexec_b64 s[0:1], vcc
	s_xor_b64 s[30:31], exec, s[0:1]
	s_cbranch_execz .LBB1_110
; %bb.101:                              ;   in Loop: Header=BB1_29 Depth=2
	v_mov_b32_e32 v1, 0
	v_cmp_ne_u32_e32 vcc, 0, v19
	v_mov_b32_e32 v2, 0
	s_and_saveexec_b64 s[34:35], vcc
	s_cbranch_execz .LBB1_109
; %bb.102:                              ;   in Loop: Header=BB1_29 Depth=2
	v_bfe_u32 v22, v19, 23, 8
	v_sub_u32_e32 v1, 0x78, v22
	v_cmp_gt_u32_e32 vcc, s53, v22
	v_cndmask_b32_e32 v1, 0, v1, vcc
	v_cmp_eq_u32_e32 vcc, 0, v22
	v_cndmask_b32_e32 v25, v1, v30, vcc
	v_and_b32_e32 v3, 0x7fffff, v19
	v_add_u32_e32 v1, 20, v25
	v_or_b32_e32 v5, 0x800000, v3
	v_lshlrev_b64 v[1:2], v1, -1
	v_cndmask_b32_e32 v5, v5, v3, vcc
	v_bfi_b32 v26, v1, 0, v5
	v_add_u32_e32 v1, 19, v25
	v_bfi_b32 v27, v2, 0, 0
	v_lshlrev_b64 v[39:40], v1, 1
	v_lshrrev_b64 v[1:2], v25, v[5:6]
	v_cmp_eq_u64_e64 s[0:1], v[26:27], v[39:40]
	v_mov_b32_e32 v3, v2
	v_mov_b32_e32 v2, v1
	s_and_saveexec_b64 s[36:37], s[0:1]
; %bb.103:                              ;   in Loop: Header=BB1_29 Depth=2
	v_bfe_u32 v2, v1, 20, 1
	v_add_co_u32_e64 v2, s[0:1], v1, v2
	v_add_co_u32_e64 v2, s[0:1], -1, v2
; %bb.104:                              ;   in Loop: Header=BB1_29 Depth=2
	s_or_b64 exec, exec, s[36:37]
	v_add_u32_e32 v3, 0xffffff81, v22
	v_cndmask_b32_e32 v3, v3, v31, vcc
	v_lshrrev_b32_e32 v5, 23, v1
	v_add3_u32 v25, v25, v3, v5
	v_add_u32_e32 v22, 7, v25
	v_and_b32_e32 v2, 0xfffff, v2
	v_add_u32_e32 v5, v2, v1
	v_cmp_ne_u32_e32 vcc, 0, v22
                                        ; implicit-def: $vgpr1_vgpr2
                                        ; implicit-def: $vgpr3
	s_and_saveexec_b64 s[0:1], vcc
	s_xor_b64 s[0:1], exec, s[0:1]
; %bb.105:                              ;   in Loop: Header=BB1_29 Depth=2
	v_cmp_lt_u64_e32 vcc, s[20:21], v[5:6]
	v_add_u32_e32 v1, 8, v25
	v_cndmask_b32_e32 v3, v22, v1, vcc
	v_cndmask_b32_e64 v1, 0, 1, vcc
	v_lshrrev_b64 v[1:2], v1, v[5:6]
; %bb.106:                              ;   in Loop: Header=BB1_29 Depth=2
	s_andn2_saveexec_b64 s[0:1], s[0:1]
; %bb.107:                              ;   in Loop: Header=BB1_29 Depth=2
	v_mov_b32_e32 v1, v5
	v_bfe_u32 v3, v5, 23, 1
	v_mov_b32_e32 v2, v6
; %bb.108:                              ;   in Loop: Header=BB1_29 Depth=2
	s_or_b64 exec, exec, s[0:1]
	v_lshrrev_b64 v[1:2], 20, v[1:2]
	v_cmp_gt_i32_e32 vcc, 16, v3
	v_cndmask_b32_e32 v2, 0, v2, vcc
	v_cndmask_b32_e32 v1, 7, v1, vcc
	v_and_b32_sdwa v5, v19, s54 dst_sel:DWORD dst_unused:UNUSED_PAD src0_sel:BYTE_3 src1_sel:DWORD
	v_min_i32_e32 v19, 15, v3
	v_cmp_eq_u64_e64 s[0:1], 0, v[1:2]
	v_cmp_eq_u32_e32 vcc, 0, v3
	v_lshl_or_b32 v2, v19, 3, v5
	v_and_or_b32 v1, v1, 7, v2
	s_and_b64 s[0:1], vcc, s[0:1]
	v_cndmask_b32_e64 v1, v1, 0, s[0:1]
.LBB1_109:                              ;   in Loop: Header=BB1_29 Depth=2
	s_or_b64 exec, exec, s[34:35]
                                        ; implicit-def: $vgpr19
.LBB1_110:                              ;   in Loop: Header=BB1_29 Depth=2
	s_andn2_saveexec_b64 s[0:1], s[30:31]
; %bb.111:                              ;   in Loop: Header=BB1_29 Depth=2
	v_or_b32_sdwa v1, v19, s55 dst_sel:DWORD dst_unused:UNUSED_PAD src0_sel:BYTE_3 src1_sel:DWORD
; %bb.112:                              ;   in Loop: Header=BB1_29 Depth=2
	s_or_b64 exec, exec, s[0:1]
.LBB1_113:                              ;   in Loop: Header=BB1_29 Depth=2
	s_or_b64 exec, exec, s[28:29]
	v_lshlrev_b32_e32 v5, 16, v4
	v_div_scale_f32 v2, s[0:1], s14, s14, v5
	v_div_scale_f32 v3, vcc, v5, s14, v5
	v_rcp_f32_e32 v19, v2
	v_fma_f32 v22, -v2, v19, 1.0
	v_fmac_f32_e32 v19, v22, v19
	v_mul_f32_e32 v22, v3, v19
	v_fma_f32 v25, -v2, v22, v3
	v_fmac_f32_e32 v22, v25, v19
	v_fma_f32 v2, -v2, v22, v3
	v_div_fmas_f32 v19, v2, v19, v22
	v_mov_b32_e32 v2, 0x80
	v_mov_b32_e32 v3, 0
	;; [unrolled: 1-line block ×4, first 2 shown]
	v_div_fixup_f32 v3, v19, s14, v5
	v_and_b32_e32 v5, 0x7f800000, v3
	v_cmp_ne_u64_e32 vcc, s[16:17], v[5:6]
	s_and_saveexec_b64 s[28:29], vcc
	s_cbranch_execz .LBB1_127
; %bb.114:                              ;   in Loop: Header=BB1_29 Depth=2
	v_and_b32_e32 v5, 0x7fffffff, v3
	v_cmp_gt_u64_e32 vcc, s[18:19], v[5:6]
                                        ; implicit-def: $vgpr25_vgpr26
	s_and_saveexec_b64 s[0:1], vcc
	s_xor_b64 s[30:31], exec, s[0:1]
	s_cbranch_execz .LBB1_124
; %bb.115:                              ;   in Loop: Header=BB1_29 Depth=2
	v_mov_b32_e32 v25, 0
	v_cmp_ne_u32_e32 vcc, 0, v3
	v_mov_b32_e32 v26, 0
	s_and_saveexec_b64 s[34:35], vcc
	s_cbranch_execz .LBB1_123
; %bb.116:                              ;   in Loop: Header=BB1_29 Depth=2
	v_bfe_u32 v19, v3, 23, 8
	v_sub_u32_e32 v22, 0x78, v19
	v_cmp_gt_u32_e32 vcc, s53, v19
	v_cndmask_b32_e32 v22, 0, v22, vcc
	v_cmp_eq_u32_e32 vcc, 0, v19
	v_cndmask_b32_e32 v22, v22, v30, vcc
	v_and_b32_e32 v5, 0x7fffff, v3
	v_add_u32_e32 v25, 20, v22
	v_or_b32_e32 v27, 0x800000, v5
	v_lshlrev_b64 v[25:26], v25, -1
	v_cndmask_b32_e32 v5, v27, v5, vcc
	v_bfi_b32 v39, v25, 0, v5
	v_add_u32_e32 v25, 19, v22
	v_bfi_b32 v40, v26, 0, 0
	v_lshlrev_b64 v[41:42], v25, 1
	v_lshrrev_b64 v[25:26], v22, v[5:6]
	v_cmp_eq_u64_e64 s[0:1], v[39:40], v[41:42]
	v_mov_b32_e32 v27, v26
	v_mov_b32_e32 v26, v25
	s_and_saveexec_b64 s[36:37], s[0:1]
; %bb.117:                              ;   in Loop: Header=BB1_29 Depth=2
	v_bfe_u32 v5, v25, 20, 1
	v_add_co_u32_e64 v5, s[0:1], v25, v5
	v_add_co_u32_e64 v26, s[0:1], -1, v5
; %bb.118:                              ;   in Loop: Header=BB1_29 Depth=2
	s_or_b64 exec, exec, s[36:37]
	v_add_u32_e32 v5, 0xffffff81, v19
	v_cndmask_b32_e32 v5, v5, v31, vcc
	v_lshrrev_b32_e32 v19, 23, v25
	v_add3_u32 v27, v22, v5, v19
	v_add_u32_e32 v22, 7, v27
	v_and_b32_e32 v5, 0xfffff, v26
	v_add_u32_e32 v5, v5, v25
	v_cmp_ne_u32_e32 vcc, 0, v22
                                        ; implicit-def: $vgpr25_vgpr26
                                        ; implicit-def: $vgpr19
	s_and_saveexec_b64 s[0:1], vcc
	s_xor_b64 s[0:1], exec, s[0:1]
; %bb.119:                              ;   in Loop: Header=BB1_29 Depth=2
	v_cmp_lt_u64_e32 vcc, s[20:21], v[5:6]
	v_add_u32_e32 v19, 8, v27
	v_cndmask_b32_e32 v19, v22, v19, vcc
	v_cndmask_b32_e64 v22, 0, 1, vcc
	v_lshrrev_b64 v[25:26], v22, v[5:6]
; %bb.120:                              ;   in Loop: Header=BB1_29 Depth=2
	s_andn2_saveexec_b64 s[0:1], s[0:1]
; %bb.121:                              ;   in Loop: Header=BB1_29 Depth=2
	v_mov_b32_e32 v26, v6
	v_bfe_u32 v19, v5, 23, 1
	v_mov_b32_e32 v25, v5
; %bb.122:                              ;   in Loop: Header=BB1_29 Depth=2
	s_or_b64 exec, exec, s[0:1]
	v_lshrrev_b64 v[25:26], 20, v[25:26]
	v_cmp_gt_i32_e32 vcc, 16, v19
	v_cndmask_b32_e32 v26, 0, v26, vcc
	v_cndmask_b32_e32 v25, 7, v25, vcc
	v_and_b32_sdwa v3, v3, s54 dst_sel:DWORD dst_unused:UNUSED_PAD src0_sel:BYTE_3 src1_sel:DWORD
	v_min_i32_e32 v5, 15, v19
	v_cmp_eq_u64_e64 s[0:1], 0, v[25:26]
	v_cmp_eq_u32_e32 vcc, 0, v19
	v_lshl_or_b32 v3, v5, 3, v3
	v_and_or_b32 v3, v25, 7, v3
	s_and_b64 s[0:1], vcc, s[0:1]
	v_cndmask_b32_e64 v25, v3, 0, s[0:1]
.LBB1_123:                              ;   in Loop: Header=BB1_29 Depth=2
	s_or_b64 exec, exec, s[34:35]
                                        ; implicit-def: $vgpr3
.LBB1_124:                              ;   in Loop: Header=BB1_29 Depth=2
	s_andn2_saveexec_b64 s[0:1], s[30:31]
; %bb.125:                              ;   in Loop: Header=BB1_29 Depth=2
	v_or_b32_sdwa v25, v3, s55 dst_sel:DWORD dst_unused:UNUSED_PAD src0_sel:BYTE_3 src1_sel:DWORD
; %bb.126:                              ;   in Loop: Header=BB1_29 Depth=2
	s_or_b64 exec, exec, s[0:1]
.LBB1_127:                              ;   in Loop: Header=BB1_29 Depth=2
	s_or_b64 exec, exec, s[28:29]
	v_and_b32_e32 v3, 0xffff0000, v4
	v_div_scale_f32 v4, s[0:1], s14, s14, v3
	v_div_scale_f32 v5, vcc, v3, s14, v3
	v_rcp_f32_e32 v19, v4
	v_fma_f32 v22, -v4, v19, 1.0
	v_fmac_f32_e32 v19, v22, v19
	v_mul_f32_e32 v22, v5, v19
	v_fma_f32 v26, -v4, v22, v5
	v_fmac_f32_e32 v22, v26, v19
	v_fma_f32 v4, -v4, v22, v5
	v_div_fmas_f32 v4, v4, v19, v22
	v_div_fixup_f32 v19, v4, s14, v3
	v_and_b32_e32 v5, 0x7f800000, v19
	v_cmp_ne_u64_e32 vcc, s[16:17], v[5:6]
	s_and_saveexec_b64 s[28:29], vcc
	s_cbranch_execz .LBB1_28
; %bb.128:                              ;   in Loop: Header=BB1_29 Depth=2
	v_and_b32_e32 v5, 0x7fffffff, v19
	v_cmp_gt_u64_e32 vcc, s[18:19], v[5:6]
                                        ; implicit-def: $vgpr2_vgpr3
	s_and_saveexec_b64 s[0:1], vcc
	s_xor_b64 s[30:31], exec, s[0:1]
	s_cbranch_execz .LBB1_138
; %bb.129:                              ;   in Loop: Header=BB1_29 Depth=2
	v_mov_b32_e32 v2, 0
	v_cmp_ne_u32_e32 vcc, 0, v19
	v_mov_b32_e32 v3, 0
	s_and_saveexec_b64 s[34:35], vcc
	s_cbranch_execz .LBB1_137
; %bb.130:                              ;   in Loop: Header=BB1_29 Depth=2
	v_bfe_u32 v22, v19, 23, 8
	v_sub_u32_e32 v2, 0x78, v22
	v_cmp_gt_u32_e32 vcc, s53, v22
	v_cndmask_b32_e32 v2, 0, v2, vcc
	v_cmp_eq_u32_e32 vcc, 0, v22
	v_cndmask_b32_e32 v26, v2, v30, vcc
	v_and_b32_e32 v4, 0x7fffff, v19
	v_add_u32_e32 v2, 20, v26
	v_or_b32_e32 v5, 0x800000, v4
	v_lshlrev_b64 v[2:3], v2, -1
	v_cndmask_b32_e32 v5, v5, v4, vcc
	v_bfi_b32 v39, v2, 0, v5
	v_add_u32_e32 v2, 19, v26
	v_bfi_b32 v40, v3, 0, 0
	v_lshlrev_b64 v[41:42], v2, 1
	v_lshrrev_b64 v[2:3], v26, v[5:6]
	v_cmp_eq_u64_e64 s[0:1], v[39:40], v[41:42]
	v_mov_b32_e32 v4, v3
	v_mov_b32_e32 v3, v2
	s_and_saveexec_b64 s[36:37], s[0:1]
; %bb.131:                              ;   in Loop: Header=BB1_29 Depth=2
	v_bfe_u32 v3, v2, 20, 1
	v_add_co_u32_e64 v3, s[0:1], v2, v3
	v_add_co_u32_e64 v3, s[0:1], -1, v3
; %bb.132:                              ;   in Loop: Header=BB1_29 Depth=2
	s_or_b64 exec, exec, s[36:37]
	v_add_u32_e32 v4, 0xffffff81, v22
	v_cndmask_b32_e32 v4, v4, v31, vcc
	v_lshrrev_b32_e32 v5, 23, v2
	v_add3_u32 v26, v26, v4, v5
	v_add_u32_e32 v22, 7, v26
	v_and_b32_e32 v3, 0xfffff, v3
	v_add_u32_e32 v5, v3, v2
	v_cmp_ne_u32_e32 vcc, 0, v22
                                        ; implicit-def: $vgpr2_vgpr3
                                        ; implicit-def: $vgpr4
	s_and_saveexec_b64 s[0:1], vcc
	s_xor_b64 s[0:1], exec, s[0:1]
; %bb.133:                              ;   in Loop: Header=BB1_29 Depth=2
	v_cmp_lt_u64_e32 vcc, s[20:21], v[5:6]
	v_add_u32_e32 v2, 8, v26
	v_cndmask_b32_e32 v4, v22, v2, vcc
	v_cndmask_b32_e64 v2, 0, 1, vcc
	v_lshrrev_b64 v[2:3], v2, v[5:6]
; %bb.134:                              ;   in Loop: Header=BB1_29 Depth=2
	s_andn2_saveexec_b64 s[0:1], s[0:1]
; %bb.135:                              ;   in Loop: Header=BB1_29 Depth=2
	v_mov_b32_e32 v2, v5
	v_bfe_u32 v4, v5, 23, 1
	v_mov_b32_e32 v3, v6
; %bb.136:                              ;   in Loop: Header=BB1_29 Depth=2
	s_or_b64 exec, exec, s[0:1]
	v_lshrrev_b64 v[2:3], 20, v[2:3]
	v_cmp_gt_i32_e32 vcc, 16, v4
	v_cndmask_b32_e32 v3, 0, v3, vcc
	v_cndmask_b32_e32 v2, 7, v2, vcc
	v_and_b32_sdwa v5, v19, s54 dst_sel:DWORD dst_unused:UNUSED_PAD src0_sel:BYTE_3 src1_sel:DWORD
	v_min_i32_e32 v19, 15, v4
	v_cmp_eq_u64_e64 s[0:1], 0, v[2:3]
	v_cmp_eq_u32_e32 vcc, 0, v4
	v_lshl_or_b32 v3, v19, 3, v5
	v_and_or_b32 v2, v2, 7, v3
	s_and_b64 s[0:1], vcc, s[0:1]
	v_cndmask_b32_e64 v2, v2, 0, s[0:1]
.LBB1_137:                              ;   in Loop: Header=BB1_29 Depth=2
	s_or_b64 exec, exec, s[34:35]
                                        ; implicit-def: $vgpr19
.LBB1_138:                              ;   in Loop: Header=BB1_29 Depth=2
	s_andn2_saveexec_b64 s[0:1], s[30:31]
	s_cbranch_execz .LBB1_27
; %bb.139:                              ;   in Loop: Header=BB1_29 Depth=2
	v_or_b32_sdwa v2, v19, s55 dst_sel:DWORD dst_unused:UNUSED_PAD src0_sel:BYTE_3 src1_sel:DWORD
	s_branch .LBB1_27
.LBB1_140:                              ;   in Loop: Header=BB1_7 Depth=1
	s_or_b64 exec, exec, s[24:25]
	v_lshlrev_b32_e32 v1, 3, v37
	v_cmp_lt_i32_e32 vcc, v1, v36
	s_and_saveexec_b64 s[24:25], vcc
	s_cbranch_execz .LBB1_157
; %bb.141:                              ;   in Loop: Header=BB1_7 Depth=1
	v_lshlrev_b64 v[2:3], 1, v[14:15]
	v_mov_b32_e32 v13, s52
	v_add_co_u32_e32 v2, vcc, v2, v9
	v_addc_co_u32_e32 v3, vcc, v3, v10, vcc
	v_add_co_u32_e32 v5, vcc, v2, v7
	v_ashrrev_i32_e32 v2, 31, v1
	v_addc_co_u32_e32 v12, vcc, v3, v8, vcc
	v_lshlrev_b64 v[3:4], 1, v[1:2]
	s_mov_b64 s[26:27], 0
	v_add_co_u32_e32 v3, vcc, v5, v3
	v_addc_co_u32_e32 v4, vcc, v12, v4, vcc
	v_mov_b32_e32 v5, s42
	v_add_co_u32_e32 v3, vcc, s41, v3
	v_addc_co_u32_e32 v4, vcc, v5, v4, vcc
	v_add_co_u32_e32 v5, vcc, v14, v32
	v_addc_co_u32_e32 v12, vcc, v15, v33, vcc
	;; [unrolled: 2-line block ×5, first 2 shown]
	s_branch .LBB1_144
.LBB1_142:                              ;   in Loop: Header=BB1_144 Depth=2
	s_or_b64 exec, exec, s[0:1]
.LBB1_143:                              ;   in Loop: Header=BB1_144 Depth=2
	s_or_b64 exec, exec, s[28:29]
	v_add_co_u32_e32 v3, vcc, 2, v3
	v_add_u32_e32 v1, 1, v1
	v_addc_co_u32_e32 v4, vcc, 0, v4, vcc
	v_cmp_ge_i32_e32 vcc, v1, v36
	global_store_byte v[12:13], v5, off
	s_or_b64 s[26:27], vcc, s[26:27]
	v_add_co_u32_e32 v12, vcc, 1, v12
	v_addc_co_u32_e32 v13, vcc, 0, v13, vcc
	s_andn2_b64 exec, exec, s[26:27]
	s_cbranch_execz .LBB1_157
.LBB1_144:                              ;   Parent Loop BB1_7 Depth=1
                                        ; =>  This Inner Loop Header: Depth=2
	global_load_ushort v2, v[3:4], off
	s_waitcnt vmcnt(0)
	v_lshlrev_b32_e32 v2, 16, v2
	v_div_scale_f32 v5, s[0:1], s14, s14, v2
	v_div_scale_f32 v14, vcc, v2, s14, v2
	v_rcp_f32_e32 v15, v5
	v_fma_f32 v16, -v5, v15, 1.0
	v_fmac_f32_e32 v15, v16, v15
	v_mul_f32_e32 v16, v14, v15
	v_fma_f32 v17, -v5, v16, v14
	v_fmac_f32_e32 v16, v17, v15
	v_fma_f32 v5, -v5, v16, v14
	v_div_fmas_f32 v5, v5, v15, v16
	v_div_fixup_f32 v2, v5, s14, v2
	v_and_b32_e32 v5, 0x7f800000, v2
	v_cmp_ne_u64_e32 vcc, s[16:17], v[5:6]
	v_mov_b32_e32 v5, 0x80
	s_and_saveexec_b64 s[28:29], vcc
	s_cbranch_execz .LBB1_143
; %bb.145:                              ;   in Loop: Header=BB1_144 Depth=2
	v_and_b32_e32 v5, 0x7fffffff, v2
	v_cmp_gt_u64_e32 vcc, s[18:19], v[5:6]
                                        ; implicit-def: $vgpr5
	s_and_saveexec_b64 s[0:1], vcc
	s_xor_b64 s[30:31], exec, s[0:1]
	s_cbranch_execz .LBB1_155
; %bb.146:                              ;   in Loop: Header=BB1_144 Depth=2
	v_cmp_ne_u32_e32 vcc, 0, v2
	v_mov_b32_e32 v5, 0
	s_and_saveexec_b64 s[34:35], vcc
	s_cbranch_execz .LBB1_154
; %bb.147:                              ;   in Loop: Header=BB1_144 Depth=2
	v_bfe_u32 v17, v2, 23, 8
	v_sub_u32_e32 v14, 0x78, v17
	v_cmp_gt_u32_e32 vcc, s53, v17
	v_cndmask_b32_e32 v14, 0, v14, vcc
	v_cmp_eq_u32_e32 vcc, 0, v17
	v_cndmask_b32_e32 v18, v14, v30, vcc
	v_and_b32_e32 v5, 0x7fffff, v2
	v_add_u32_e32 v14, 20, v18
	v_or_b32_e32 v16, 0x800000, v5
	v_lshlrev_b64 v[14:15], v14, -1
	v_cndmask_b32_e32 v5, v16, v5, vcc
	v_bfi_b32 v19, v14, 0, v5
	v_add_u32_e32 v14, 19, v18
	v_bfi_b32 v20, v15, 0, 0
	v_lshlrev_b64 v[21:22], v14, 1
	v_lshrrev_b64 v[14:15], v18, v[5:6]
	v_cmp_eq_u64_e64 s[0:1], v[19:20], v[21:22]
	v_mov_b32_e32 v16, v15
	v_mov_b32_e32 v15, v14
	s_and_saveexec_b64 s[36:37], s[0:1]
; %bb.148:                              ;   in Loop: Header=BB1_144 Depth=2
	v_bfe_u32 v5, v14, 20, 1
	v_add_co_u32_e64 v5, s[0:1], v14, v5
	v_add_co_u32_e64 v15, s[0:1], -1, v5
; %bb.149:                              ;   in Loop: Header=BB1_144 Depth=2
	s_or_b64 exec, exec, s[36:37]
	v_add_u32_e32 v5, 0xffffff81, v17
	v_cndmask_b32_e32 v5, v5, v31, vcc
	v_lshrrev_b32_e32 v16, 23, v14
	v_add3_u32 v18, v18, v5, v16
	v_add_u32_e32 v17, 7, v18
	v_and_b32_e32 v5, 0xfffff, v15
	v_add_u32_e32 v5, v5, v14
	v_cmp_ne_u32_e32 vcc, 0, v17
                                        ; implicit-def: $vgpr14_vgpr15
                                        ; implicit-def: $vgpr16
	s_and_saveexec_b64 s[0:1], vcc
	s_xor_b64 s[0:1], exec, s[0:1]
; %bb.150:                              ;   in Loop: Header=BB1_144 Depth=2
	v_cmp_lt_u64_e32 vcc, s[20:21], v[5:6]
	v_add_u32_e32 v14, 8, v18
	v_cndmask_b32_e32 v16, v17, v14, vcc
	v_cndmask_b32_e64 v14, 0, 1, vcc
	v_lshrrev_b64 v[14:15], v14, v[5:6]
; %bb.151:                              ;   in Loop: Header=BB1_144 Depth=2
	s_andn2_saveexec_b64 s[0:1], s[0:1]
; %bb.152:                              ;   in Loop: Header=BB1_144 Depth=2
	v_mov_b32_e32 v15, v6
	v_bfe_u32 v16, v5, 23, 1
	v_mov_b32_e32 v14, v5
; %bb.153:                              ;   in Loop: Header=BB1_144 Depth=2
	s_or_b64 exec, exec, s[0:1]
	v_lshrrev_b64 v[14:15], 20, v[14:15]
	v_cmp_gt_i32_e32 vcc, 16, v16
	v_cndmask_b32_e32 v15, 0, v15, vcc
	v_cndmask_b32_e32 v14, 7, v14, vcc
	v_and_b32_sdwa v2, v2, s54 dst_sel:DWORD dst_unused:UNUSED_PAD src0_sel:BYTE_3 src1_sel:DWORD
	v_min_i32_e32 v5, 15, v16
	v_cmp_eq_u64_e64 s[0:1], 0, v[14:15]
	v_cmp_eq_u32_e32 vcc, 0, v16
	v_lshl_or_b32 v2, v5, 3, v2
	v_and_or_b32 v2, v14, 7, v2
	s_and_b64 s[0:1], vcc, s[0:1]
	v_cndmask_b32_e64 v5, v2, 0, s[0:1]
.LBB1_154:                              ;   in Loop: Header=BB1_144 Depth=2
	s_or_b64 exec, exec, s[34:35]
                                        ; implicit-def: $vgpr2
.LBB1_155:                              ;   in Loop: Header=BB1_144 Depth=2
	s_andn2_saveexec_b64 s[0:1], s[30:31]
	s_cbranch_execz .LBB1_142
; %bb.156:                              ;   in Loop: Header=BB1_144 Depth=2
	v_or_b32_sdwa v5, v2, s55 dst_sel:DWORD dst_unused:UNUSED_PAD src0_sel:BYTE_3 src1_sel:DWORD
	s_branch .LBB1_142
.LBB1_157:                              ;   in Loop: Header=BB1_7 Depth=1
	s_or_b64 exec, exec, s[24:25]
                                        ; implicit-def: $vgpr12_vgpr13
                                        ; implicit-def: $vgpr34
                                        ; implicit-def: $vgpr35
.LBB1_158:                              ;   in Loop: Header=BB1_7 Depth=1
	s_andn2_saveexec_b64 s[22:23], s[22:23]
	s_cbranch_execz .LBB1_274
; %bb.159:                              ;   in Loop: Header=BB1_7 Depth=1
	s_andn2_b64 vcc, exec, s[2:3]
	s_cbranch_vccnz .LBB1_274
; %bb.160:                              ;   in Loop: Header=BB1_7 Depth=1
	v_add_co_u32_e32 v1, vcc, v32, v34
	v_addc_co_u32_e32 v2, vcc, v33, v35, vcc
	v_mov_b32_e32 v3, s52
	v_add_co_u32_e32 v14, vcc, s51, v1
	v_addc_co_u32_e32 v15, vcc, v3, v2, vcc
	s_mov_b32 s34, s10
	s_branch .LBB1_163
.LBB1_161:                              ;   in Loop: Header=BB1_163 Depth=2
	s_or_b64 exec, exec, s[0:1]
.LBB1_162:                              ;   in Loop: Header=BB1_163 Depth=2
	s_or_b64 exec, exec, s[24:25]
	v_lshlrev_b32_e32 v3, 16, v23
	v_lshlrev_b32_e32 v2, 24, v2
	v_and_b32_e32 v3, 0xff0000, v3
	v_lshlrev_b32_e32 v1, 8, v1
	v_or_b32_e32 v2, v2, v3
	v_and_b32_e32 v1, 0xff00, v1
	v_and_b32_e32 v3, 0xff, v22
	v_or3_b32 v2, v2, v1, v3
	v_lshlrev_b32_e32 v1, 16, v21
	v_lshlrev_b32_e32 v3, 8, v16
	v_perm_b32 v1, v19, v1, s57
	v_and_or_b32 v1, v3, s56, v1
	v_or_b32_sdwa v1, v1, v18 dst_sel:DWORD dst_unused:UNUSED_PAD src0_sel:DWORD src1_sel:BYTE_0
	global_store_dwordx2 v[14:15], v[1:2], off
	v_add_co_u32_e32 v14, vcc, 8, v14
	v_addc_co_u32_e32 v15, vcc, 0, v15, vcc
	s_add_i32 s34, s34, -1
	v_add_co_u32_e32 v12, vcc, 16, v12
	s_cmp_eq_u32 s34, 0
	v_addc_co_u32_e32 v13, vcc, 0, v13, vcc
	s_cbranch_scc1 .LBB1_274
.LBB1_163:                              ;   Parent Loop BB1_7 Depth=1
                                        ; =>  This Inner Loop Header: Depth=2
	global_load_dwordx4 v[1:4], v[12:13], off
	s_waitcnt vmcnt(0)
	v_lshlrev_b32_e32 v5, 16, v1
	v_div_scale_f32 v16, s[0:1], s14, s14, v5
	v_div_scale_f32 v17, vcc, v5, s14, v5
	v_rcp_f32_e32 v18, v16
	v_fma_f32 v19, -v16, v18, 1.0
	v_fmac_f32_e32 v18, v19, v18
	v_mul_f32_e32 v19, v17, v18
	v_fma_f32 v20, -v16, v19, v17
	v_fmac_f32_e32 v19, v20, v18
	v_fma_f32 v16, -v16, v19, v17
	v_div_fmas_f32 v18, v16, v18, v19
	v_mov_b32_e32 v16, 0x80
	v_mov_b32_e32 v17, 0
	v_div_fixup_f32 v20, v18, s14, v5
	v_and_b32_e32 v5, 0x7f800000, v20
	v_cmp_ne_u64_e32 vcc, s[16:17], v[5:6]
	v_mov_b32_e32 v18, 0x80
	v_mov_b32_e32 v19, 0
	s_and_saveexec_b64 s[24:25], vcc
	s_cbranch_execz .LBB1_177
; %bb.164:                              ;   in Loop: Header=BB1_163 Depth=2
	v_and_b32_e32 v5, 0x7fffffff, v20
	v_cmp_gt_u64_e32 vcc, s[18:19], v[5:6]
                                        ; implicit-def: $vgpr18_vgpr19
	s_and_saveexec_b64 s[0:1], vcc
	s_xor_b64 s[26:27], exec, s[0:1]
	s_cbranch_execz .LBB1_174
; %bb.165:                              ;   in Loop: Header=BB1_163 Depth=2
	v_mov_b32_e32 v18, 0
	v_cmp_ne_u32_e32 vcc, 0, v20
	v_mov_b32_e32 v19, 0
	s_and_saveexec_b64 s[28:29], vcc
	s_cbranch_execz .LBB1_173
; %bb.166:                              ;   in Loop: Header=BB1_163 Depth=2
	v_bfe_u32 v21, v20, 23, 8
	v_sub_u32_e32 v17, 0x78, v21
	v_cmp_gt_u32_e32 vcc, s53, v21
	v_cndmask_b32_e32 v17, 0, v17, vcc
	v_cmp_eq_u32_e32 vcc, 0, v21
	v_cndmask_b32_e32 v22, v17, v30, vcc
	v_and_b32_e32 v5, 0x7fffff, v20
	v_add_u32_e32 v17, 20, v22
	v_or_b32_e32 v19, 0x800000, v5
	v_lshlrev_b64 v[17:18], v17, -1
	v_cndmask_b32_e32 v5, v19, v5, vcc
	v_bfi_b32 v23, v17, 0, v5
	v_add_u32_e32 v17, 19, v22
	v_bfi_b32 v24, v18, 0, 0
	v_lshlrev_b64 v[25:26], v17, 1
	v_lshrrev_b64 v[17:18], v22, v[5:6]
	v_cmp_eq_u64_e64 s[0:1], v[23:24], v[25:26]
	v_mov_b32_e32 v19, v18
	v_mov_b32_e32 v18, v17
	s_and_saveexec_b64 s[30:31], s[0:1]
; %bb.167:                              ;   in Loop: Header=BB1_163 Depth=2
	v_bfe_u32 v5, v17, 20, 1
	v_add_co_u32_e64 v5, s[0:1], v17, v5
	v_add_co_u32_e64 v18, s[0:1], -1, v5
; %bb.168:                              ;   in Loop: Header=BB1_163 Depth=2
	s_or_b64 exec, exec, s[30:31]
	v_add_u32_e32 v5, 0xffffff81, v21
	v_cndmask_b32_e32 v5, v5, v31, vcc
	v_lshrrev_b32_e32 v19, 23, v17
	v_add3_u32 v22, v22, v5, v19
	v_add_u32_e32 v21, 7, v22
	v_and_b32_e32 v5, 0xfffff, v18
	v_add_u32_e32 v5, v5, v17
	v_cmp_ne_u32_e32 vcc, 0, v21
                                        ; implicit-def: $vgpr17_vgpr18
                                        ; implicit-def: $vgpr19
	s_and_saveexec_b64 s[0:1], vcc
	s_xor_b64 s[0:1], exec, s[0:1]
; %bb.169:                              ;   in Loop: Header=BB1_163 Depth=2
	v_cmp_lt_u64_e32 vcc, s[20:21], v[5:6]
	v_add_u32_e32 v17, 8, v22
	v_cndmask_b32_e32 v19, v21, v17, vcc
	v_cndmask_b32_e64 v17, 0, 1, vcc
	v_lshrrev_b64 v[17:18], v17, v[5:6]
; %bb.170:                              ;   in Loop: Header=BB1_163 Depth=2
	s_andn2_saveexec_b64 s[0:1], s[0:1]
; %bb.171:                              ;   in Loop: Header=BB1_163 Depth=2
	v_mov_b32_e32 v18, v6
	v_bfe_u32 v19, v5, 23, 1
	v_mov_b32_e32 v17, v5
; %bb.172:                              ;   in Loop: Header=BB1_163 Depth=2
	s_or_b64 exec, exec, s[0:1]
	v_lshrrev_b64 v[17:18], 20, v[17:18]
	v_cmp_gt_i32_e32 vcc, 16, v19
	v_cndmask_b32_e32 v18, 0, v18, vcc
	v_cndmask_b32_e32 v17, 7, v17, vcc
	v_and_b32_sdwa v5, v20, s54 dst_sel:DWORD dst_unused:UNUSED_PAD src0_sel:BYTE_3 src1_sel:DWORD
	v_min_i32_e32 v20, 15, v19
	v_cmp_eq_u64_e64 s[0:1], 0, v[17:18]
	v_cmp_eq_u32_e32 vcc, 0, v19
	v_lshl_or_b32 v5, v20, 3, v5
	v_and_or_b32 v5, v17, 7, v5
	s_and_b64 s[0:1], vcc, s[0:1]
	v_cndmask_b32_e64 v18, v5, 0, s[0:1]
.LBB1_173:                              ;   in Loop: Header=BB1_163 Depth=2
	s_or_b64 exec, exec, s[28:29]
                                        ; implicit-def: $vgpr20
.LBB1_174:                              ;   in Loop: Header=BB1_163 Depth=2
	s_andn2_saveexec_b64 s[0:1], s[26:27]
; %bb.175:                              ;   in Loop: Header=BB1_163 Depth=2
	v_or_b32_sdwa v18, v20, s55 dst_sel:DWORD dst_unused:UNUSED_PAD src0_sel:BYTE_3 src1_sel:DWORD
; %bb.176:                              ;   in Loop: Header=BB1_163 Depth=2
	s_or_b64 exec, exec, s[0:1]
.LBB1_177:                              ;   in Loop: Header=BB1_163 Depth=2
	s_or_b64 exec, exec, s[24:25]
	v_and_b32_e32 v1, 0xffff0000, v1
	v_div_scale_f32 v5, s[0:1], s14, s14, v1
	v_div_scale_f32 v17, vcc, v1, s14, v1
	v_rcp_f32_e32 v19, v5
	v_fma_f32 v20, -v5, v19, 1.0
	v_fmac_f32_e32 v19, v20, v19
	v_mul_f32_e32 v20, v17, v19
	v_fma_f32 v21, -v5, v20, v17
	v_fmac_f32_e32 v20, v21, v19
	v_fma_f32 v5, -v5, v20, v17
	v_div_fmas_f32 v5, v5, v19, v20
	v_div_fixup_f32 v1, v5, s14, v1
	v_and_b32_e32 v5, 0x7f800000, v1
	v_cmp_ne_u64_e32 vcc, s[16:17], v[5:6]
	s_and_saveexec_b64 s[24:25], vcc
	s_cbranch_execz .LBB1_191
; %bb.178:                              ;   in Loop: Header=BB1_163 Depth=2
	v_and_b32_e32 v5, 0x7fffffff, v1
	v_cmp_gt_u64_e32 vcc, s[18:19], v[5:6]
                                        ; implicit-def: $vgpr16_vgpr17
	s_and_saveexec_b64 s[0:1], vcc
	s_xor_b64 s[26:27], exec, s[0:1]
	s_cbranch_execz .LBB1_188
; %bb.179:                              ;   in Loop: Header=BB1_163 Depth=2
	v_mov_b32_e32 v16, 0
	v_cmp_ne_u32_e32 vcc, 0, v1
	v_mov_b32_e32 v17, 0
	s_and_saveexec_b64 s[28:29], vcc
	s_cbranch_execz .LBB1_187
; %bb.180:                              ;   in Loop: Header=BB1_163 Depth=2
	v_bfe_u32 v21, v1, 23, 8
	v_sub_u32_e32 v16, 0x78, v21
	v_cmp_gt_u32_e32 vcc, s53, v21
	v_cndmask_b32_e32 v16, 0, v16, vcc
	v_cmp_eq_u32_e32 vcc, 0, v21
	v_cndmask_b32_e32 v22, v16, v30, vcc
	v_and_b32_e32 v5, 0x7fffff, v1
	v_add_u32_e32 v16, 20, v22
	v_or_b32_e32 v19, 0x800000, v5
	v_lshlrev_b64 v[16:17], v16, -1
	v_cndmask_b32_e32 v5, v19, v5, vcc
	v_bfi_b32 v19, v16, 0, v5
	v_add_u32_e32 v16, 19, v22
	v_bfi_b32 v20, v17, 0, 0
	v_lshlrev_b64 v[23:24], v16, 1
	v_lshrrev_b64 v[16:17], v22, v[5:6]
	v_cmp_eq_u64_e64 s[0:1], v[19:20], v[23:24]
	v_mov_b32_e32 v20, v17
	v_mov_b32_e32 v19, v16
	s_and_saveexec_b64 s[30:31], s[0:1]
; %bb.181:                              ;   in Loop: Header=BB1_163 Depth=2
	v_bfe_u32 v5, v16, 20, 1
	v_add_co_u32_e64 v5, s[0:1], v16, v5
	v_add_co_u32_e64 v19, s[0:1], -1, v5
; %bb.182:                              ;   in Loop: Header=BB1_163 Depth=2
	s_or_b64 exec, exec, s[30:31]
	v_add_u32_e32 v5, 0xffffff81, v21
	v_cndmask_b32_e32 v5, v5, v31, vcc
	v_lshrrev_b32_e32 v17, 23, v16
	v_add3_u32 v21, v22, v5, v17
	v_add_u32_e32 v20, 7, v21
	v_and_b32_e32 v5, 0xfffff, v19
	v_add_u32_e32 v5, v5, v16
	v_cmp_ne_u32_e32 vcc, 0, v20
                                        ; implicit-def: $vgpr16_vgpr17
                                        ; implicit-def: $vgpr19
	s_and_saveexec_b64 s[0:1], vcc
	s_xor_b64 s[0:1], exec, s[0:1]
; %bb.183:                              ;   in Loop: Header=BB1_163 Depth=2
	v_cmp_lt_u64_e32 vcc, s[20:21], v[5:6]
	v_add_u32_e32 v16, 8, v21
	v_cndmask_b32_e32 v19, v20, v16, vcc
	v_cndmask_b32_e64 v16, 0, 1, vcc
	v_lshrrev_b64 v[16:17], v16, v[5:6]
; %bb.184:                              ;   in Loop: Header=BB1_163 Depth=2
	s_andn2_saveexec_b64 s[0:1], s[0:1]
; %bb.185:                              ;   in Loop: Header=BB1_163 Depth=2
	v_mov_b32_e32 v17, v6
	v_bfe_u32 v19, v5, 23, 1
	v_mov_b32_e32 v16, v5
; %bb.186:                              ;   in Loop: Header=BB1_163 Depth=2
	s_or_b64 exec, exec, s[0:1]
	v_lshrrev_b64 v[16:17], 20, v[16:17]
	v_cmp_gt_i32_e32 vcc, 16, v19
	v_cndmask_b32_e32 v17, 0, v17, vcc
	v_cndmask_b32_e32 v16, 7, v16, vcc
	v_and_b32_sdwa v1, v1, s54 dst_sel:DWORD dst_unused:UNUSED_PAD src0_sel:BYTE_3 src1_sel:DWORD
	v_min_i32_e32 v5, 15, v19
	v_cmp_eq_u64_e64 s[0:1], 0, v[16:17]
	v_cmp_eq_u32_e32 vcc, 0, v19
	v_lshl_or_b32 v1, v5, 3, v1
	v_and_or_b32 v1, v16, 7, v1
	s_and_b64 s[0:1], vcc, s[0:1]
	v_cndmask_b32_e64 v16, v1, 0, s[0:1]
.LBB1_187:                              ;   in Loop: Header=BB1_163 Depth=2
	s_or_b64 exec, exec, s[28:29]
                                        ; implicit-def: $vgpr1
.LBB1_188:                              ;   in Loop: Header=BB1_163 Depth=2
	s_andn2_saveexec_b64 s[0:1], s[26:27]
; %bb.189:                              ;   in Loop: Header=BB1_163 Depth=2
	v_or_b32_sdwa v16, v1, s55 dst_sel:DWORD dst_unused:UNUSED_PAD src0_sel:BYTE_3 src1_sel:DWORD
; %bb.190:                              ;   in Loop: Header=BB1_163 Depth=2
	s_or_b64 exec, exec, s[0:1]
.LBB1_191:                              ;   in Loop: Header=BB1_163 Depth=2
	s_or_b64 exec, exec, s[24:25]
	v_lshlrev_b32_e32 v1, 16, v2
	v_div_scale_f32 v5, s[0:1], s14, s14, v1
	v_div_scale_f32 v17, vcc, v1, s14, v1
	v_rcp_f32_e32 v19, v5
	v_fma_f32 v20, -v5, v19, 1.0
	v_fmac_f32_e32 v19, v20, v19
	v_mul_f32_e32 v20, v17, v19
	v_fma_f32 v21, -v5, v20, v17
	v_fmac_f32_e32 v20, v21, v19
	v_fma_f32 v5, -v5, v20, v17
	v_div_fmas_f32 v5, v5, v19, v20
	v_mov_b32_e32 v19, 0x80
	v_mov_b32_e32 v21, 0x80
	;; [unrolled: 1-line block ×4, first 2 shown]
	v_div_fixup_f32 v1, v5, s14, v1
	v_and_b32_e32 v5, 0x7f800000, v1
	v_cmp_ne_u64_e32 vcc, s[16:17], v[5:6]
	s_and_saveexec_b64 s[24:25], vcc
	s_cbranch_execz .LBB1_205
; %bb.192:                              ;   in Loop: Header=BB1_163 Depth=2
	v_and_b32_e32 v5, 0x7fffffff, v1
	v_cmp_gt_u64_e32 vcc, s[18:19], v[5:6]
                                        ; implicit-def: $vgpr21_vgpr22
	s_and_saveexec_b64 s[0:1], vcc
	s_xor_b64 s[26:27], exec, s[0:1]
	s_cbranch_execz .LBB1_202
; %bb.193:                              ;   in Loop: Header=BB1_163 Depth=2
	v_mov_b32_e32 v21, 0
	v_cmp_ne_u32_e32 vcc, 0, v1
	v_mov_b32_e32 v22, 0
	s_and_saveexec_b64 s[28:29], vcc
	s_cbranch_execz .LBB1_201
; %bb.194:                              ;   in Loop: Header=BB1_163 Depth=2
	v_bfe_u32 v17, v1, 23, 8
	v_cmp_gt_u32_e64 s[0:1], s53, v17
	v_sub_u32_e32 v20, 0x78, v17
	v_cmp_eq_u32_e32 vcc, 0, v17
	v_cndmask_b32_e64 v20, 0, v20, s[0:1]
	v_and_b32_e32 v5, 0x7fffff, v1
	v_cndmask_b32_e32 v23, v20, v30, vcc
	v_or_b32_e32 v21, 0x800000, v5
	v_add_u32_e32 v20, 20, v23
	v_cndmask_b32_e32 v5, v21, v5, vcc
	v_lshlrev_b64 v[20:21], v20, -1
	v_add_u32_e32 v22, 19, v23
	v_lshlrev_b64 v[24:25], v22, 1
	v_bfi_b32 v21, v21, 0, 0
	v_bfi_b32 v20, v20, 0, v5
	v_cmp_eq_u64_e64 s[0:1], v[20:21], v[24:25]
	v_lshrrev_b64 v[20:21], v23, v[5:6]
	v_mov_b32_e32 v22, v21
	v_mov_b32_e32 v21, v20
	s_and_saveexec_b64 s[30:31], s[0:1]
; %bb.195:                              ;   in Loop: Header=BB1_163 Depth=2
	v_bfe_u32 v5, v20, 20, 1
	v_add_co_u32_e64 v5, s[0:1], v20, v5
	v_add_co_u32_e64 v21, s[0:1], -1, v5
; %bb.196:                              ;   in Loop: Header=BB1_163 Depth=2
	s_or_b64 exec, exec, s[30:31]
	v_add_u32_e32 v5, 0xffffff81, v17
	v_cndmask_b32_e32 v5, v5, v31, vcc
	v_lshrrev_b32_e32 v17, 23, v20
	v_add3_u32 v23, v23, v5, v17
	v_add_u32_e32 v22, 7, v23
	v_and_b32_e32 v5, 0xfffff, v21
	v_add_u32_e32 v5, v5, v20
	v_cmp_ne_u32_e32 vcc, 0, v22
                                        ; implicit-def: $vgpr20_vgpr21
                                        ; implicit-def: $vgpr17
	s_and_saveexec_b64 s[0:1], vcc
	s_xor_b64 s[0:1], exec, s[0:1]
; %bb.197:                              ;   in Loop: Header=BB1_163 Depth=2
	v_cmp_lt_u64_e32 vcc, s[20:21], v[5:6]
	v_add_u32_e32 v17, 8, v23
	v_cndmask_b32_e64 v20, 0, 1, vcc
	v_lshrrev_b64 v[20:21], v20, v[5:6]
	v_cndmask_b32_e32 v17, v22, v17, vcc
; %bb.198:                              ;   in Loop: Header=BB1_163 Depth=2
	s_andn2_saveexec_b64 s[0:1], s[0:1]
; %bb.199:                              ;   in Loop: Header=BB1_163 Depth=2
	v_mov_b32_e32 v21, v6
	v_bfe_u32 v17, v5, 23, 1
	v_mov_b32_e32 v20, v5
; %bb.200:                              ;   in Loop: Header=BB1_163 Depth=2
	s_or_b64 exec, exec, s[0:1]
	v_lshrrev_b64 v[20:21], 20, v[20:21]
	v_cmp_gt_i32_e32 vcc, 16, v17
	v_cndmask_b32_e32 v21, 0, v21, vcc
	v_cndmask_b32_e32 v20, 7, v20, vcc
	v_and_b32_sdwa v1, v1, s54 dst_sel:DWORD dst_unused:UNUSED_PAD src0_sel:BYTE_3 src1_sel:DWORD
	v_min_i32_e32 v5, 15, v17
	v_cmp_eq_u64_e64 s[0:1], 0, v[20:21]
	v_cmp_eq_u32_e32 vcc, 0, v17
	v_lshl_or_b32 v1, v5, 3, v1
	v_and_or_b32 v1, v20, 7, v1
	s_and_b64 s[0:1], vcc, s[0:1]
	v_cndmask_b32_e64 v21, v1, 0, s[0:1]
.LBB1_201:                              ;   in Loop: Header=BB1_163 Depth=2
	s_or_b64 exec, exec, s[28:29]
                                        ; implicit-def: $vgpr1
.LBB1_202:                              ;   in Loop: Header=BB1_163 Depth=2
	s_andn2_saveexec_b64 s[0:1], s[26:27]
; %bb.203:                              ;   in Loop: Header=BB1_163 Depth=2
	v_or_b32_sdwa v21, v1, s55 dst_sel:DWORD dst_unused:UNUSED_PAD src0_sel:BYTE_3 src1_sel:DWORD
; %bb.204:                              ;   in Loop: Header=BB1_163 Depth=2
	s_or_b64 exec, exec, s[0:1]
.LBB1_205:                              ;   in Loop: Header=BB1_163 Depth=2
	s_or_b64 exec, exec, s[24:25]
	v_and_b32_e32 v1, 0xffff0000, v2
	v_div_scale_f32 v2, s[0:1], s14, s14, v1
	v_div_scale_f32 v5, vcc, v1, s14, v1
	v_rcp_f32_e32 v17, v2
	v_fma_f32 v20, -v2, v17, 1.0
	v_fmac_f32_e32 v17, v20, v17
	v_mul_f32_e32 v20, v5, v17
	v_fma_f32 v22, -v2, v20, v5
	v_fmac_f32_e32 v20, v22, v17
	v_fma_f32 v2, -v2, v20, v5
	v_div_fmas_f32 v2, v2, v17, v20
	v_div_fixup_f32 v17, v2, s14, v1
	v_and_b32_e32 v5, 0x7f800000, v17
	v_cmp_ne_u64_e32 vcc, s[16:17], v[5:6]
	s_and_saveexec_b64 s[24:25], vcc
	s_cbranch_execz .LBB1_219
; %bb.206:                              ;   in Loop: Header=BB1_163 Depth=2
	v_and_b32_e32 v5, 0x7fffffff, v17
	v_cmp_gt_u64_e32 vcc, s[18:19], v[5:6]
                                        ; implicit-def: $vgpr19_vgpr20
	s_and_saveexec_b64 s[0:1], vcc
	s_xor_b64 s[26:27], exec, s[0:1]
	s_cbranch_execz .LBB1_216
; %bb.207:                              ;   in Loop: Header=BB1_163 Depth=2
	v_mov_b32_e32 v19, 0
	v_cmp_ne_u32_e32 vcc, 0, v17
	v_mov_b32_e32 v20, 0
	s_and_saveexec_b64 s[28:29], vcc
	s_cbranch_execz .LBB1_215
; %bb.208:                              ;   in Loop: Header=BB1_163 Depth=2
	v_bfe_u32 v22, v17, 23, 8
	v_sub_u32_e32 v1, 0x78, v22
	v_cmp_gt_u32_e32 vcc, s53, v22
	v_cndmask_b32_e32 v1, 0, v1, vcc
	v_cmp_eq_u32_e32 vcc, 0, v22
	v_cndmask_b32_e32 v23, v1, v30, vcc
	v_and_b32_e32 v5, 0x7fffff, v17
	v_add_u32_e32 v1, 20, v23
	v_or_b32_e32 v19, 0x800000, v5
	v_lshlrev_b64 v[1:2], v1, -1
	v_cndmask_b32_e32 v5, v19, v5, vcc
	v_bfi_b32 v19, v1, 0, v5
	v_add_u32_e32 v1, 19, v23
	v_bfi_b32 v20, v2, 0, 0
	v_lshlrev_b64 v[24:25], v1, 1
	v_lshrrev_b64 v[1:2], v23, v[5:6]
	v_cmp_eq_u64_e64 s[0:1], v[19:20], v[24:25]
	v_mov_b32_e32 v20, v2
	v_mov_b32_e32 v19, v1
	s_and_saveexec_b64 s[30:31], s[0:1]
; %bb.209:                              ;   in Loop: Header=BB1_163 Depth=2
	v_bfe_u32 v2, v1, 20, 1
	v_add_co_u32_e64 v2, s[0:1], v1, v2
	v_add_co_u32_e64 v19, s[0:1], -1, v2
; %bb.210:                              ;   in Loop: Header=BB1_163 Depth=2
	s_or_b64 exec, exec, s[30:31]
	v_add_u32_e32 v2, 0xffffff81, v22
	v_cndmask_b32_e32 v2, v2, v31, vcc
	v_lshrrev_b32_e32 v5, 23, v1
	v_add3_u32 v22, v23, v2, v5
	v_add_u32_e32 v20, 7, v22
	v_and_b32_e32 v2, 0xfffff, v19
	v_add_u32_e32 v5, v2, v1
	v_cmp_ne_u32_e32 vcc, 0, v20
                                        ; implicit-def: $vgpr1_vgpr2
                                        ; implicit-def: $vgpr19
	s_and_saveexec_b64 s[0:1], vcc
	s_xor_b64 s[0:1], exec, s[0:1]
; %bb.211:                              ;   in Loop: Header=BB1_163 Depth=2
	v_cmp_lt_u64_e32 vcc, s[20:21], v[5:6]
	v_add_u32_e32 v1, 8, v22
	v_cndmask_b32_e32 v19, v20, v1, vcc
	v_cndmask_b32_e64 v1, 0, 1, vcc
	v_lshrrev_b64 v[1:2], v1, v[5:6]
; %bb.212:                              ;   in Loop: Header=BB1_163 Depth=2
	s_andn2_saveexec_b64 s[0:1], s[0:1]
; %bb.213:                              ;   in Loop: Header=BB1_163 Depth=2
	v_mov_b32_e32 v1, v5
	v_bfe_u32 v19, v5, 23, 1
	v_mov_b32_e32 v2, v6
; %bb.214:                              ;   in Loop: Header=BB1_163 Depth=2
	s_or_b64 exec, exec, s[0:1]
	v_lshrrev_b64 v[1:2], 20, v[1:2]
	v_cmp_gt_i32_e32 vcc, 16, v19
	v_cndmask_b32_e32 v2, 0, v2, vcc
	v_cndmask_b32_e32 v1, 7, v1, vcc
	v_and_b32_sdwa v5, v17, s54 dst_sel:DWORD dst_unused:UNUSED_PAD src0_sel:BYTE_3 src1_sel:DWORD
	v_min_i32_e32 v17, 15, v19
	v_cmp_eq_u64_e64 s[0:1], 0, v[1:2]
	v_cmp_eq_u32_e32 vcc, 0, v19
	v_lshl_or_b32 v2, v17, 3, v5
	v_and_or_b32 v1, v1, 7, v2
	s_and_b64 s[0:1], vcc, s[0:1]
	v_cndmask_b32_e64 v19, v1, 0, s[0:1]
.LBB1_215:                              ;   in Loop: Header=BB1_163 Depth=2
	s_or_b64 exec, exec, s[28:29]
                                        ; implicit-def: $vgpr17
.LBB1_216:                              ;   in Loop: Header=BB1_163 Depth=2
	s_andn2_saveexec_b64 s[0:1], s[26:27]
; %bb.217:                              ;   in Loop: Header=BB1_163 Depth=2
	v_or_b32_sdwa v19, v17, s55 dst_sel:DWORD dst_unused:UNUSED_PAD src0_sel:BYTE_3 src1_sel:DWORD
; %bb.218:                              ;   in Loop: Header=BB1_163 Depth=2
	s_or_b64 exec, exec, s[0:1]
.LBB1_219:                              ;   in Loop: Header=BB1_163 Depth=2
	s_or_b64 exec, exec, s[24:25]
	v_lshlrev_b32_e32 v5, 16, v3
	v_div_scale_f32 v1, s[0:1], s14, s14, v5
	v_div_scale_f32 v2, vcc, v5, s14, v5
	v_rcp_f32_e32 v17, v1
	v_fma_f32 v20, -v1, v17, 1.0
	v_fmac_f32_e32 v17, v20, v17
	v_mul_f32_e32 v20, v2, v17
	v_fma_f32 v22, -v1, v20, v2
	v_fmac_f32_e32 v20, v22, v17
	v_fma_f32 v1, -v1, v20, v2
	v_div_fmas_f32 v17, v1, v17, v20
	v_mov_b32_e32 v1, 0x80
	v_mov_b32_e32 v2, 0
	;; [unrolled: 1-line block ×4, first 2 shown]
	v_div_fixup_f32 v2, v17, s14, v5
	v_and_b32_e32 v5, 0x7f800000, v2
	v_cmp_ne_u64_e32 vcc, s[16:17], v[5:6]
	s_and_saveexec_b64 s[24:25], vcc
	s_cbranch_execz .LBB1_233
; %bb.220:                              ;   in Loop: Header=BB1_163 Depth=2
	v_and_b32_e32 v5, 0x7fffffff, v2
	v_cmp_gt_u64_e32 vcc, s[18:19], v[5:6]
                                        ; implicit-def: $vgpr22_vgpr23
	s_and_saveexec_b64 s[0:1], vcc
	s_xor_b64 s[26:27], exec, s[0:1]
	s_cbranch_execz .LBB1_230
; %bb.221:                              ;   in Loop: Header=BB1_163 Depth=2
	v_mov_b32_e32 v22, 0
	v_cmp_ne_u32_e32 vcc, 0, v2
	v_mov_b32_e32 v23, 0
	s_and_saveexec_b64 s[28:29], vcc
	s_cbranch_execz .LBB1_229
; %bb.222:                              ;   in Loop: Header=BB1_163 Depth=2
	v_bfe_u32 v17, v2, 23, 8
	v_sub_u32_e32 v20, 0x78, v17
	v_cmp_gt_u32_e32 vcc, s53, v17
	v_cndmask_b32_e32 v20, 0, v20, vcc
	v_cmp_eq_u32_e32 vcc, 0, v17
	v_cndmask_b32_e32 v20, v20, v30, vcc
	v_and_b32_e32 v5, 0x7fffff, v2
	v_add_u32_e32 v22, 20, v20
	v_or_b32_e32 v24, 0x800000, v5
	v_lshlrev_b64 v[22:23], v22, -1
	v_cndmask_b32_e32 v5, v24, v5, vcc
	v_bfi_b32 v24, v22, 0, v5
	v_add_u32_e32 v22, 19, v20
	v_bfi_b32 v25, v23, 0, 0
	v_lshlrev_b64 v[26:27], v22, 1
	v_lshrrev_b64 v[22:23], v20, v[5:6]
	v_cmp_eq_u64_e64 s[0:1], v[24:25], v[26:27]
	v_mov_b32_e32 v24, v23
	v_mov_b32_e32 v23, v22
	s_and_saveexec_b64 s[30:31], s[0:1]
; %bb.223:                              ;   in Loop: Header=BB1_163 Depth=2
	v_bfe_u32 v5, v22, 20, 1
	v_add_co_u32_e64 v5, s[0:1], v22, v5
	v_add_co_u32_e64 v23, s[0:1], -1, v5
; %bb.224:                              ;   in Loop: Header=BB1_163 Depth=2
	s_or_b64 exec, exec, s[30:31]
	v_add_u32_e32 v5, 0xffffff81, v17
	v_cndmask_b32_e32 v5, v5, v31, vcc
	v_lshrrev_b32_e32 v17, 23, v22
	v_add3_u32 v24, v20, v5, v17
	v_add_u32_e32 v20, 7, v24
	v_and_b32_e32 v5, 0xfffff, v23
	v_add_u32_e32 v5, v5, v22
	v_cmp_ne_u32_e32 vcc, 0, v20
                                        ; implicit-def: $vgpr22_vgpr23
                                        ; implicit-def: $vgpr17
	s_and_saveexec_b64 s[0:1], vcc
	s_xor_b64 s[0:1], exec, s[0:1]
; %bb.225:                              ;   in Loop: Header=BB1_163 Depth=2
	v_cmp_lt_u64_e32 vcc, s[20:21], v[5:6]
	v_add_u32_e32 v17, 8, v24
	v_cndmask_b32_e32 v17, v20, v17, vcc
	v_cndmask_b32_e64 v20, 0, 1, vcc
	v_lshrrev_b64 v[22:23], v20, v[5:6]
; %bb.226:                              ;   in Loop: Header=BB1_163 Depth=2
	s_andn2_saveexec_b64 s[0:1], s[0:1]
; %bb.227:                              ;   in Loop: Header=BB1_163 Depth=2
	v_mov_b32_e32 v23, v6
	v_bfe_u32 v17, v5, 23, 1
	v_mov_b32_e32 v22, v5
; %bb.228:                              ;   in Loop: Header=BB1_163 Depth=2
	s_or_b64 exec, exec, s[0:1]
	v_lshrrev_b64 v[22:23], 20, v[22:23]
	v_cmp_gt_i32_e32 vcc, 16, v17
	v_cndmask_b32_e32 v23, 0, v23, vcc
	v_cndmask_b32_e32 v22, 7, v22, vcc
	v_and_b32_sdwa v2, v2, s54 dst_sel:DWORD dst_unused:UNUSED_PAD src0_sel:BYTE_3 src1_sel:DWORD
	v_min_i32_e32 v5, 15, v17
	v_cmp_eq_u64_e64 s[0:1], 0, v[22:23]
	v_cmp_eq_u32_e32 vcc, 0, v17
	v_lshl_or_b32 v2, v5, 3, v2
	v_and_or_b32 v2, v22, 7, v2
	s_and_b64 s[0:1], vcc, s[0:1]
	v_cndmask_b32_e64 v22, v2, 0, s[0:1]
.LBB1_229:                              ;   in Loop: Header=BB1_163 Depth=2
	s_or_b64 exec, exec, s[28:29]
                                        ; implicit-def: $vgpr2
.LBB1_230:                              ;   in Loop: Header=BB1_163 Depth=2
	s_andn2_saveexec_b64 s[0:1], s[26:27]
; %bb.231:                              ;   in Loop: Header=BB1_163 Depth=2
	v_or_b32_sdwa v22, v2, s55 dst_sel:DWORD dst_unused:UNUSED_PAD src0_sel:BYTE_3 src1_sel:DWORD
; %bb.232:                              ;   in Loop: Header=BB1_163 Depth=2
	s_or_b64 exec, exec, s[0:1]
.LBB1_233:                              ;   in Loop: Header=BB1_163 Depth=2
	s_or_b64 exec, exec, s[24:25]
	v_and_b32_e32 v2, 0xffff0000, v3
	v_div_scale_f32 v3, s[0:1], s14, s14, v2
	v_div_scale_f32 v5, vcc, v2, s14, v2
	v_rcp_f32_e32 v17, v3
	v_fma_f32 v20, -v3, v17, 1.0
	v_fmac_f32_e32 v17, v20, v17
	v_mul_f32_e32 v20, v5, v17
	v_fma_f32 v23, -v3, v20, v5
	v_fmac_f32_e32 v20, v23, v17
	v_fma_f32 v3, -v3, v20, v5
	v_div_fmas_f32 v3, v3, v17, v20
	v_div_fixup_f32 v17, v3, s14, v2
	v_and_b32_e32 v5, 0x7f800000, v17
	v_cmp_ne_u64_e32 vcc, s[16:17], v[5:6]
	s_and_saveexec_b64 s[24:25], vcc
	s_cbranch_execz .LBB1_247
; %bb.234:                              ;   in Loop: Header=BB1_163 Depth=2
	v_and_b32_e32 v5, 0x7fffffff, v17
	v_cmp_gt_u64_e32 vcc, s[18:19], v[5:6]
                                        ; implicit-def: $vgpr1_vgpr2
	s_and_saveexec_b64 s[0:1], vcc
	s_xor_b64 s[26:27], exec, s[0:1]
	s_cbranch_execz .LBB1_244
; %bb.235:                              ;   in Loop: Header=BB1_163 Depth=2
	v_mov_b32_e32 v1, 0
	v_cmp_ne_u32_e32 vcc, 0, v17
	v_mov_b32_e32 v2, 0
	s_and_saveexec_b64 s[28:29], vcc
	s_cbranch_execz .LBB1_243
; %bb.236:                              ;   in Loop: Header=BB1_163 Depth=2
	v_bfe_u32 v20, v17, 23, 8
	v_sub_u32_e32 v1, 0x78, v20
	v_cmp_gt_u32_e32 vcc, s53, v20
	v_cndmask_b32_e32 v1, 0, v1, vcc
	v_cmp_eq_u32_e32 vcc, 0, v20
	v_cndmask_b32_e32 v23, v1, v30, vcc
	v_and_b32_e32 v3, 0x7fffff, v17
	v_add_u32_e32 v1, 20, v23
	v_or_b32_e32 v5, 0x800000, v3
	v_lshlrev_b64 v[1:2], v1, -1
	v_cndmask_b32_e32 v5, v5, v3, vcc
	v_bfi_b32 v24, v1, 0, v5
	v_add_u32_e32 v1, 19, v23
	v_bfi_b32 v25, v2, 0, 0
	v_lshlrev_b64 v[26:27], v1, 1
	v_lshrrev_b64 v[1:2], v23, v[5:6]
	v_cmp_eq_u64_e64 s[0:1], v[24:25], v[26:27]
	v_mov_b32_e32 v3, v2
	v_mov_b32_e32 v2, v1
	s_and_saveexec_b64 s[30:31], s[0:1]
; %bb.237:                              ;   in Loop: Header=BB1_163 Depth=2
	v_bfe_u32 v2, v1, 20, 1
	v_add_co_u32_e64 v2, s[0:1], v1, v2
	v_add_co_u32_e64 v2, s[0:1], -1, v2
; %bb.238:                              ;   in Loop: Header=BB1_163 Depth=2
	s_or_b64 exec, exec, s[30:31]
	v_add_u32_e32 v3, 0xffffff81, v20
	v_cndmask_b32_e32 v3, v3, v31, vcc
	v_lshrrev_b32_e32 v5, 23, v1
	v_add3_u32 v23, v23, v3, v5
	v_add_u32_e32 v20, 7, v23
	v_and_b32_e32 v2, 0xfffff, v2
	v_add_u32_e32 v5, v2, v1
	v_cmp_ne_u32_e32 vcc, 0, v20
                                        ; implicit-def: $vgpr1_vgpr2
                                        ; implicit-def: $vgpr3
	s_and_saveexec_b64 s[0:1], vcc
	s_xor_b64 s[0:1], exec, s[0:1]
; %bb.239:                              ;   in Loop: Header=BB1_163 Depth=2
	v_cmp_lt_u64_e32 vcc, s[20:21], v[5:6]
	v_add_u32_e32 v1, 8, v23
	v_cndmask_b32_e32 v3, v20, v1, vcc
	v_cndmask_b32_e64 v1, 0, 1, vcc
	v_lshrrev_b64 v[1:2], v1, v[5:6]
; %bb.240:                              ;   in Loop: Header=BB1_163 Depth=2
	s_andn2_saveexec_b64 s[0:1], s[0:1]
; %bb.241:                              ;   in Loop: Header=BB1_163 Depth=2
	v_mov_b32_e32 v1, v5
	v_bfe_u32 v3, v5, 23, 1
	v_mov_b32_e32 v2, v6
; %bb.242:                              ;   in Loop: Header=BB1_163 Depth=2
	s_or_b64 exec, exec, s[0:1]
	v_lshrrev_b64 v[1:2], 20, v[1:2]
	v_cmp_gt_i32_e32 vcc, 16, v3
	v_cndmask_b32_e32 v2, 0, v2, vcc
	v_cndmask_b32_e32 v1, 7, v1, vcc
	v_and_b32_sdwa v5, v17, s54 dst_sel:DWORD dst_unused:UNUSED_PAD src0_sel:BYTE_3 src1_sel:DWORD
	v_min_i32_e32 v17, 15, v3
	v_cmp_eq_u64_e64 s[0:1], 0, v[1:2]
	v_cmp_eq_u32_e32 vcc, 0, v3
	v_lshl_or_b32 v2, v17, 3, v5
	v_and_or_b32 v1, v1, 7, v2
	s_and_b64 s[0:1], vcc, s[0:1]
	v_cndmask_b32_e64 v1, v1, 0, s[0:1]
.LBB1_243:                              ;   in Loop: Header=BB1_163 Depth=2
	s_or_b64 exec, exec, s[28:29]
                                        ; implicit-def: $vgpr17
.LBB1_244:                              ;   in Loop: Header=BB1_163 Depth=2
	s_andn2_saveexec_b64 s[0:1], s[26:27]
; %bb.245:                              ;   in Loop: Header=BB1_163 Depth=2
	v_or_b32_sdwa v1, v17, s55 dst_sel:DWORD dst_unused:UNUSED_PAD src0_sel:BYTE_3 src1_sel:DWORD
; %bb.246:                              ;   in Loop: Header=BB1_163 Depth=2
	s_or_b64 exec, exec, s[0:1]
.LBB1_247:                              ;   in Loop: Header=BB1_163 Depth=2
	s_or_b64 exec, exec, s[24:25]
	v_lshlrev_b32_e32 v5, 16, v4
	v_div_scale_f32 v2, s[0:1], s14, s14, v5
	v_div_scale_f32 v3, vcc, v5, s14, v5
	v_rcp_f32_e32 v17, v2
	v_fma_f32 v20, -v2, v17, 1.0
	v_fmac_f32_e32 v17, v20, v17
	v_mul_f32_e32 v20, v3, v17
	v_fma_f32 v23, -v2, v20, v3
	v_fmac_f32_e32 v20, v23, v17
	v_fma_f32 v2, -v2, v20, v3
	v_div_fmas_f32 v17, v2, v17, v20
	v_mov_b32_e32 v2, 0x80
	v_mov_b32_e32 v3, 0
	;; [unrolled: 1-line block ×4, first 2 shown]
	v_div_fixup_f32 v3, v17, s14, v5
	v_and_b32_e32 v5, 0x7f800000, v3
	v_cmp_ne_u64_e32 vcc, s[16:17], v[5:6]
	s_and_saveexec_b64 s[24:25], vcc
	s_cbranch_execz .LBB1_261
; %bb.248:                              ;   in Loop: Header=BB1_163 Depth=2
	v_and_b32_e32 v5, 0x7fffffff, v3
	v_cmp_gt_u64_e32 vcc, s[18:19], v[5:6]
                                        ; implicit-def: $vgpr23_vgpr24
	s_and_saveexec_b64 s[0:1], vcc
	s_xor_b64 s[26:27], exec, s[0:1]
	s_cbranch_execz .LBB1_258
; %bb.249:                              ;   in Loop: Header=BB1_163 Depth=2
	v_mov_b32_e32 v23, 0
	v_cmp_ne_u32_e32 vcc, 0, v3
	v_mov_b32_e32 v24, 0
	s_and_saveexec_b64 s[28:29], vcc
	s_cbranch_execz .LBB1_257
; %bb.250:                              ;   in Loop: Header=BB1_163 Depth=2
	v_bfe_u32 v17, v3, 23, 8
	v_sub_u32_e32 v20, 0x78, v17
	v_cmp_gt_u32_e32 vcc, s53, v17
	v_cndmask_b32_e32 v20, 0, v20, vcc
	v_cmp_eq_u32_e32 vcc, 0, v17
	v_cndmask_b32_e32 v20, v20, v30, vcc
	v_and_b32_e32 v5, 0x7fffff, v3
	v_add_u32_e32 v23, 20, v20
	v_or_b32_e32 v25, 0x800000, v5
	v_lshlrev_b64 v[23:24], v23, -1
	v_cndmask_b32_e32 v5, v25, v5, vcc
	v_bfi_b32 v25, v23, 0, v5
	v_add_u32_e32 v23, 19, v20
	v_bfi_b32 v26, v24, 0, 0
	v_lshlrev_b64 v[34:35], v23, 1
	v_lshrrev_b64 v[23:24], v20, v[5:6]
	v_cmp_eq_u64_e64 s[0:1], v[25:26], v[34:35]
	v_mov_b32_e32 v25, v24
	v_mov_b32_e32 v24, v23
	s_and_saveexec_b64 s[30:31], s[0:1]
; %bb.251:                              ;   in Loop: Header=BB1_163 Depth=2
	v_bfe_u32 v5, v23, 20, 1
	v_add_co_u32_e64 v5, s[0:1], v23, v5
	v_add_co_u32_e64 v24, s[0:1], -1, v5
; %bb.252:                              ;   in Loop: Header=BB1_163 Depth=2
	s_or_b64 exec, exec, s[30:31]
	v_add_u32_e32 v5, 0xffffff81, v17
	v_cndmask_b32_e32 v5, v5, v31, vcc
	v_lshrrev_b32_e32 v17, 23, v23
	v_add3_u32 v25, v20, v5, v17
	v_add_u32_e32 v20, 7, v25
	v_and_b32_e32 v5, 0xfffff, v24
	v_add_u32_e32 v5, v5, v23
	v_cmp_ne_u32_e32 vcc, 0, v20
                                        ; implicit-def: $vgpr23_vgpr24
                                        ; implicit-def: $vgpr17
	s_and_saveexec_b64 s[0:1], vcc
	s_xor_b64 s[0:1], exec, s[0:1]
; %bb.253:                              ;   in Loop: Header=BB1_163 Depth=2
	v_cmp_lt_u64_e32 vcc, s[20:21], v[5:6]
	v_add_u32_e32 v17, 8, v25
	v_cndmask_b32_e32 v17, v20, v17, vcc
	v_cndmask_b32_e64 v20, 0, 1, vcc
	v_lshrrev_b64 v[23:24], v20, v[5:6]
; %bb.254:                              ;   in Loop: Header=BB1_163 Depth=2
	s_andn2_saveexec_b64 s[0:1], s[0:1]
; %bb.255:                              ;   in Loop: Header=BB1_163 Depth=2
	v_mov_b32_e32 v24, v6
	v_bfe_u32 v17, v5, 23, 1
	v_mov_b32_e32 v23, v5
; %bb.256:                              ;   in Loop: Header=BB1_163 Depth=2
	s_or_b64 exec, exec, s[0:1]
	v_lshrrev_b64 v[23:24], 20, v[23:24]
	v_cmp_gt_i32_e32 vcc, 16, v17
	v_cndmask_b32_e32 v24, 0, v24, vcc
	v_cndmask_b32_e32 v23, 7, v23, vcc
	v_and_b32_sdwa v3, v3, s54 dst_sel:DWORD dst_unused:UNUSED_PAD src0_sel:BYTE_3 src1_sel:DWORD
	v_min_i32_e32 v5, 15, v17
	v_cmp_eq_u64_e64 s[0:1], 0, v[23:24]
	v_cmp_eq_u32_e32 vcc, 0, v17
	v_lshl_or_b32 v3, v5, 3, v3
	v_and_or_b32 v3, v23, 7, v3
	s_and_b64 s[0:1], vcc, s[0:1]
	v_cndmask_b32_e64 v23, v3, 0, s[0:1]
.LBB1_257:                              ;   in Loop: Header=BB1_163 Depth=2
	s_or_b64 exec, exec, s[28:29]
                                        ; implicit-def: $vgpr3
.LBB1_258:                              ;   in Loop: Header=BB1_163 Depth=2
	s_andn2_saveexec_b64 s[0:1], s[26:27]
; %bb.259:                              ;   in Loop: Header=BB1_163 Depth=2
	v_or_b32_sdwa v23, v3, s55 dst_sel:DWORD dst_unused:UNUSED_PAD src0_sel:BYTE_3 src1_sel:DWORD
; %bb.260:                              ;   in Loop: Header=BB1_163 Depth=2
	s_or_b64 exec, exec, s[0:1]
.LBB1_261:                              ;   in Loop: Header=BB1_163 Depth=2
	s_or_b64 exec, exec, s[24:25]
	v_and_b32_e32 v3, 0xffff0000, v4
	v_div_scale_f32 v4, s[0:1], s14, s14, v3
	v_div_scale_f32 v5, vcc, v3, s14, v3
	v_rcp_f32_e32 v17, v4
	v_fma_f32 v20, -v4, v17, 1.0
	v_fmac_f32_e32 v17, v20, v17
	v_mul_f32_e32 v20, v5, v17
	v_fma_f32 v24, -v4, v20, v5
	v_fmac_f32_e32 v20, v24, v17
	v_fma_f32 v4, -v4, v20, v5
	v_div_fmas_f32 v4, v4, v17, v20
	v_div_fixup_f32 v17, v4, s14, v3
	v_and_b32_e32 v5, 0x7f800000, v17
	v_cmp_ne_u64_e32 vcc, s[16:17], v[5:6]
	s_and_saveexec_b64 s[24:25], vcc
	s_cbranch_execz .LBB1_162
; %bb.262:                              ;   in Loop: Header=BB1_163 Depth=2
	v_and_b32_e32 v5, 0x7fffffff, v17
	v_cmp_gt_u64_e32 vcc, s[18:19], v[5:6]
                                        ; implicit-def: $vgpr2_vgpr3
	s_and_saveexec_b64 s[0:1], vcc
	s_xor_b64 s[26:27], exec, s[0:1]
	s_cbranch_execz .LBB1_272
; %bb.263:                              ;   in Loop: Header=BB1_163 Depth=2
	v_mov_b32_e32 v2, 0
	v_cmp_ne_u32_e32 vcc, 0, v17
	v_mov_b32_e32 v3, 0
	s_and_saveexec_b64 s[28:29], vcc
	s_cbranch_execz .LBB1_271
; %bb.264:                              ;   in Loop: Header=BB1_163 Depth=2
	v_bfe_u32 v20, v17, 23, 8
	v_sub_u32_e32 v2, 0x78, v20
	v_cmp_gt_u32_e32 vcc, s53, v20
	v_cndmask_b32_e32 v2, 0, v2, vcc
	v_cmp_eq_u32_e32 vcc, 0, v20
	v_cndmask_b32_e32 v24, v2, v30, vcc
	v_and_b32_e32 v4, 0x7fffff, v17
	v_add_u32_e32 v2, 20, v24
	v_or_b32_e32 v5, 0x800000, v4
	v_lshlrev_b64 v[2:3], v2, -1
	v_cndmask_b32_e32 v5, v5, v4, vcc
	v_bfi_b32 v25, v2, 0, v5
	v_add_u32_e32 v2, 19, v24
	v_bfi_b32 v26, v3, 0, 0
	v_lshlrev_b64 v[34:35], v2, 1
	v_lshrrev_b64 v[2:3], v24, v[5:6]
	v_cmp_eq_u64_e64 s[0:1], v[25:26], v[34:35]
	v_mov_b32_e32 v4, v3
	v_mov_b32_e32 v3, v2
	s_and_saveexec_b64 s[30:31], s[0:1]
; %bb.265:                              ;   in Loop: Header=BB1_163 Depth=2
	v_bfe_u32 v3, v2, 20, 1
	v_add_co_u32_e64 v3, s[0:1], v2, v3
	v_add_co_u32_e64 v3, s[0:1], -1, v3
; %bb.266:                              ;   in Loop: Header=BB1_163 Depth=2
	s_or_b64 exec, exec, s[30:31]
	v_add_u32_e32 v4, 0xffffff81, v20
	v_cndmask_b32_e32 v4, v4, v31, vcc
	v_lshrrev_b32_e32 v5, 23, v2
	v_add3_u32 v24, v24, v4, v5
	v_add_u32_e32 v20, 7, v24
	v_and_b32_e32 v3, 0xfffff, v3
	v_add_u32_e32 v5, v3, v2
	v_cmp_ne_u32_e32 vcc, 0, v20
                                        ; implicit-def: $vgpr2_vgpr3
                                        ; implicit-def: $vgpr4
	s_and_saveexec_b64 s[0:1], vcc
	s_xor_b64 s[0:1], exec, s[0:1]
; %bb.267:                              ;   in Loop: Header=BB1_163 Depth=2
	v_cmp_lt_u64_e32 vcc, s[20:21], v[5:6]
	v_add_u32_e32 v2, 8, v24
	v_cndmask_b32_e32 v4, v20, v2, vcc
	v_cndmask_b32_e64 v2, 0, 1, vcc
	v_lshrrev_b64 v[2:3], v2, v[5:6]
; %bb.268:                              ;   in Loop: Header=BB1_163 Depth=2
	s_andn2_saveexec_b64 s[0:1], s[0:1]
; %bb.269:                              ;   in Loop: Header=BB1_163 Depth=2
	v_mov_b32_e32 v2, v5
	v_bfe_u32 v4, v5, 23, 1
	v_mov_b32_e32 v3, v6
; %bb.270:                              ;   in Loop: Header=BB1_163 Depth=2
	s_or_b64 exec, exec, s[0:1]
	v_lshrrev_b64 v[2:3], 20, v[2:3]
	v_cmp_gt_i32_e32 vcc, 16, v4
	v_cndmask_b32_e32 v3, 0, v3, vcc
	v_cndmask_b32_e32 v2, 7, v2, vcc
	v_and_b32_sdwa v5, v17, s54 dst_sel:DWORD dst_unused:UNUSED_PAD src0_sel:BYTE_3 src1_sel:DWORD
	v_min_i32_e32 v17, 15, v4
	v_cmp_eq_u64_e64 s[0:1], 0, v[2:3]
	v_cmp_eq_u32_e32 vcc, 0, v4
	v_lshl_or_b32 v3, v17, 3, v5
	v_and_or_b32 v2, v2, 7, v3
	s_and_b64 s[0:1], vcc, s[0:1]
	v_cndmask_b32_e64 v2, v2, 0, s[0:1]
.LBB1_271:                              ;   in Loop: Header=BB1_163 Depth=2
	s_or_b64 exec, exec, s[28:29]
                                        ; implicit-def: $vgpr17
.LBB1_272:                              ;   in Loop: Header=BB1_163 Depth=2
	s_andn2_saveexec_b64 s[0:1], s[26:27]
	s_cbranch_execz .LBB1_161
; %bb.273:                              ;   in Loop: Header=BB1_163 Depth=2
	v_or_b32_sdwa v2, v17, s55 dst_sel:DWORD dst_unused:UNUSED_PAD src0_sel:BYTE_3 src1_sel:DWORD
	s_branch .LBB1_161
.LBB1_274:                              ;   in Loop: Header=BB1_7 Depth=1
	s_or_b64 exec, exec, s[22:23]
	s_andn2_b64 vcc, exec, s[6:7]
	s_cbranch_vccnz .LBB1_6
; %bb.275:                              ;   in Loop: Header=BB1_7 Depth=1
	v_mov_b32_e32 v1, s44
	v_add_co_u32_e32 v2, vcc, s43, v7
	v_addc_co_u32_e32 v5, vcc, v1, v8, vcc
	v_mul_lo_u32 v3, v11, s12
	v_add_co_u32_e32 v1, vcc, v2, v9
	v_addc_co_u32_e32 v2, vcc, v5, v10, vcc
	v_mov_b32_e32 v5, s46
	v_add_co_u32_e32 v7, vcc, s45, v32
	v_addc_co_u32_e32 v5, vcc, v5, v33, vcc
	v_ashrrev_i32_e32 v4, 31, v3
	v_add_co_u32_e32 v3, vcc, v7, v3
	v_addc_co_u32_e32 v4, vcc, v5, v4, vcc
	v_mov_b32_e32 v5, s40
	v_add_co_u32_e32 v7, vcc, s39, v3
	v_addc_co_u32_e32 v8, vcc, v4, v5, vcc
	s_mov_b32 s30, 0
	s_mov_b32 s31, s13
	s_branch .LBB1_278
.LBB1_276:                              ;   in Loop: Header=BB1_278 Depth=2
	s_or_b64 exec, exec, s[0:1]
.LBB1_277:                              ;   in Loop: Header=BB1_278 Depth=2
	s_or_b64 exec, exec, s[22:23]
	s_ashr_i32 s0, s30, 31
	v_mov_b32_e32 v5, s0
	v_add_co_u32_e32 v4, vcc, s30, v7
	v_addc_co_u32_e32 v5, vcc, v8, v5, vcc
	s_add_i32 s31, s31, -1
	s_add_i32 s30, s30, s12
	v_add_co_u32_e32 v1, vcc, 2, v1
	s_cmp_eq_u32 s31, 0
	v_addc_co_u32_e32 v2, vcc, 0, v2, vcc
	global_store_byte v[4:5], v3, off
	s_cbranch_scc1 .LBB1_6
.LBB1_278:                              ;   Parent Loop BB1_7 Depth=1
                                        ; =>  This Inner Loop Header: Depth=2
	global_load_ushort v3, v[1:2], off
	s_waitcnt vmcnt(0)
	v_lshlrev_b32_e32 v3, 16, v3
	v_div_scale_f32 v4, s[0:1], s15, s15, v3
	v_div_scale_f32 v5, vcc, v3, s15, v3
	v_rcp_f32_e32 v9, v4
	v_fma_f32 v10, -v4, v9, 1.0
	v_fmac_f32_e32 v9, v10, v9
	v_mul_f32_e32 v10, v5, v9
	v_fma_f32 v11, -v4, v10, v5
	v_fmac_f32_e32 v10, v11, v9
	v_fma_f32 v4, -v4, v10, v5
	v_div_fmas_f32 v4, v4, v9, v10
	v_div_fixup_f32 v9, v4, s15, v3
	v_and_b32_e32 v5, 0x7f800000, v9
	v_cmp_ne_u64_e32 vcc, s[16:17], v[5:6]
	v_mov_b32_e32 v3, 0x80
	s_and_saveexec_b64 s[22:23], vcc
	s_cbranch_execz .LBB1_277
; %bb.279:                              ;   in Loop: Header=BB1_278 Depth=2
	v_and_b32_e32 v5, 0x7fffffff, v9
	v_cmp_gt_u64_e32 vcc, s[18:19], v[5:6]
                                        ; implicit-def: $vgpr3
	s_and_saveexec_b64 s[0:1], vcc
	s_xor_b64 s[24:25], exec, s[0:1]
	s_cbranch_execz .LBB1_289
; %bb.280:                              ;   in Loop: Header=BB1_278 Depth=2
	v_cmp_ne_u32_e32 vcc, 0, v9
	v_mov_b32_e32 v3, 0
	s_and_saveexec_b64 s[26:27], vcc
	s_cbranch_execz .LBB1_288
; %bb.281:                              ;   in Loop: Header=BB1_278 Depth=2
	v_bfe_u32 v10, v9, 23, 8
	v_sub_u32_e32 v3, 0x78, v10
	v_cmp_gt_u32_e32 vcc, s53, v10
	v_cndmask_b32_e32 v3, 0, v3, vcc
	v_cmp_eq_u32_e32 vcc, 0, v10
	v_cndmask_b32_e32 v11, v3, v30, vcc
	v_and_b32_e32 v5, 0x7fffff, v9
	v_add_u32_e32 v3, 20, v11
	v_or_b32_e32 v12, 0x800000, v5
	v_lshlrev_b64 v[3:4], v3, -1
	v_cndmask_b32_e32 v5, v12, v5, vcc
	v_bfi_b32 v12, v3, 0, v5
	v_add_u32_e32 v3, 19, v11
	v_bfi_b32 v13, v4, 0, 0
	v_lshlrev_b64 v[14:15], v3, 1
	v_lshrrev_b64 v[3:4], v11, v[5:6]
	v_cmp_eq_u64_e64 s[0:1], v[12:13], v[14:15]
	v_mov_b32_e32 v5, v4
	v_mov_b32_e32 v4, v3
	s_and_saveexec_b64 s[28:29], s[0:1]
; %bb.282:                              ;   in Loop: Header=BB1_278 Depth=2
	v_bfe_u32 v4, v3, 20, 1
	v_add_co_u32_e64 v4, s[0:1], v3, v4
	v_add_co_u32_e64 v4, s[0:1], -1, v4
; %bb.283:                              ;   in Loop: Header=BB1_278 Depth=2
	s_or_b64 exec, exec, s[28:29]
	v_add_u32_e32 v5, 0xffffff81, v10
	v_cndmask_b32_e32 v5, v5, v31, vcc
	v_lshrrev_b32_e32 v10, 23, v3
	v_add3_u32 v12, v11, v5, v10
	v_add_u32_e32 v11, 7, v12
	v_and_b32_e32 v4, 0xfffff, v4
	v_add_u32_e32 v5, v4, v3
	v_cmp_ne_u32_e32 vcc, 0, v11
                                        ; implicit-def: $vgpr3_vgpr4
                                        ; implicit-def: $vgpr10
	s_and_saveexec_b64 s[0:1], vcc
	s_xor_b64 s[0:1], exec, s[0:1]
; %bb.284:                              ;   in Loop: Header=BB1_278 Depth=2
	v_cmp_lt_u64_e32 vcc, s[20:21], v[5:6]
	v_add_u32_e32 v3, 8, v12
	v_cndmask_b32_e32 v10, v11, v3, vcc
	v_cndmask_b32_e64 v3, 0, 1, vcc
	v_lshrrev_b64 v[3:4], v3, v[5:6]
; %bb.285:                              ;   in Loop: Header=BB1_278 Depth=2
	s_andn2_saveexec_b64 s[0:1], s[0:1]
; %bb.286:                              ;   in Loop: Header=BB1_278 Depth=2
	v_mov_b32_e32 v3, v5
	v_bfe_u32 v10, v5, 23, 1
	v_mov_b32_e32 v4, v6
; %bb.287:                              ;   in Loop: Header=BB1_278 Depth=2
	s_or_b64 exec, exec, s[0:1]
	v_lshrrev_b64 v[3:4], 20, v[3:4]
	v_cmp_gt_i32_e32 vcc, 16, v10
	v_cndmask_b32_e32 v4, 0, v4, vcc
	v_cndmask_b32_e32 v3, 7, v3, vcc
	v_and_b32_sdwa v5, v9, s54 dst_sel:DWORD dst_unused:UNUSED_PAD src0_sel:BYTE_3 src1_sel:DWORD
	v_min_i32_e32 v9, 15, v10
	v_cmp_eq_u64_e64 s[0:1], 0, v[3:4]
	v_cmp_eq_u32_e32 vcc, 0, v10
	v_lshl_or_b32 v4, v9, 3, v5
	v_and_or_b32 v3, v3, 7, v4
	s_and_b64 s[0:1], vcc, s[0:1]
	v_cndmask_b32_e64 v3, v3, 0, s[0:1]
.LBB1_288:                              ;   in Loop: Header=BB1_278 Depth=2
	s_or_b64 exec, exec, s[26:27]
                                        ; implicit-def: $vgpr9
.LBB1_289:                              ;   in Loop: Header=BB1_278 Depth=2
	s_andn2_saveexec_b64 s[0:1], s[24:25]
	s_cbranch_execz .LBB1_276
; %bb.290:                              ;   in Loop: Header=BB1_278 Depth=2
	v_or_b32_sdwa v3, v9, s55 dst_sel:DWORD dst_unused:UNUSED_PAD src0_sel:BYTE_3 src1_sel:DWORD
	s_branch .LBB1_276
.LBB1_291:
	s_endpgm
.LBB1_292:
                                        ; implicit-def: $sgpr24_sgpr25
	s_branch .LBB1_3
	.section	.rodata,"a",@progbits
	.p2align	6, 0x0
	.amdhsa_kernel _Z24reshape_and_cache_kernelI14__hip_bfloat16hL18Fp8KVCacheDataType1EEvPKT_S4_PT0_S6_PKliiiiiiff
		.amdhsa_group_segment_fixed_size 0
		.amdhsa_private_segment_fixed_size 0
		.amdhsa_kernarg_size 328
		.amdhsa_user_sgpr_count 6
		.amdhsa_user_sgpr_private_segment_buffer 1
		.amdhsa_user_sgpr_dispatch_ptr 0
		.amdhsa_user_sgpr_queue_ptr 0
		.amdhsa_user_sgpr_kernarg_segment_ptr 1
		.amdhsa_user_sgpr_dispatch_id 0
		.amdhsa_user_sgpr_flat_scratch_init 0
		.amdhsa_user_sgpr_private_segment_size 0
		.amdhsa_uses_dynamic_stack 0
		.amdhsa_system_sgpr_private_segment_wavefront_offset 0
		.amdhsa_system_sgpr_workgroup_id_x 1
		.amdhsa_system_sgpr_workgroup_id_y 0
		.amdhsa_system_sgpr_workgroup_id_z 0
		.amdhsa_system_sgpr_workgroup_info 0
		.amdhsa_system_vgpr_workitem_id 0
		.amdhsa_next_free_vgpr 43
		.amdhsa_next_free_sgpr 58
		.amdhsa_reserve_vcc 1
		.amdhsa_reserve_flat_scratch 0
		.amdhsa_float_round_mode_32 0
		.amdhsa_float_round_mode_16_64 0
		.amdhsa_float_denorm_mode_32 3
		.amdhsa_float_denorm_mode_16_64 3
		.amdhsa_dx10_clamp 1
		.amdhsa_ieee_mode 1
		.amdhsa_fp16_overflow 0
		.amdhsa_exception_fp_ieee_invalid_op 0
		.amdhsa_exception_fp_denorm_src 0
		.amdhsa_exception_fp_ieee_div_zero 0
		.amdhsa_exception_fp_ieee_overflow 0
		.amdhsa_exception_fp_ieee_underflow 0
		.amdhsa_exception_fp_ieee_inexact 0
		.amdhsa_exception_int_div_zero 0
	.end_amdhsa_kernel
	.section	.text._Z24reshape_and_cache_kernelI14__hip_bfloat16hL18Fp8KVCacheDataType1EEvPKT_S4_PT0_S6_PKliiiiiiff,"axG",@progbits,_Z24reshape_and_cache_kernelI14__hip_bfloat16hL18Fp8KVCacheDataType1EEvPKT_S4_PT0_S6_PKliiiiiiff,comdat
.Lfunc_end1:
	.size	_Z24reshape_and_cache_kernelI14__hip_bfloat16hL18Fp8KVCacheDataType1EEvPKT_S4_PT0_S6_PKliiiiiiff, .Lfunc_end1-_Z24reshape_and_cache_kernelI14__hip_bfloat16hL18Fp8KVCacheDataType1EEvPKT_S4_PT0_S6_PKliiiiiiff
                                        ; -- End function
	.set _Z24reshape_and_cache_kernelI14__hip_bfloat16hL18Fp8KVCacheDataType1EEvPKT_S4_PT0_S6_PKliiiiiiff.num_vgpr, 43
	.set _Z24reshape_and_cache_kernelI14__hip_bfloat16hL18Fp8KVCacheDataType1EEvPKT_S4_PT0_S6_PKliiiiiiff.num_agpr, 0
	.set _Z24reshape_and_cache_kernelI14__hip_bfloat16hL18Fp8KVCacheDataType1EEvPKT_S4_PT0_S6_PKliiiiiiff.numbered_sgpr, 58
	.set _Z24reshape_and_cache_kernelI14__hip_bfloat16hL18Fp8KVCacheDataType1EEvPKT_S4_PT0_S6_PKliiiiiiff.num_named_barrier, 0
	.set _Z24reshape_and_cache_kernelI14__hip_bfloat16hL18Fp8KVCacheDataType1EEvPKT_S4_PT0_S6_PKliiiiiiff.private_seg_size, 0
	.set _Z24reshape_and_cache_kernelI14__hip_bfloat16hL18Fp8KVCacheDataType1EEvPKT_S4_PT0_S6_PKliiiiiiff.uses_vcc, 1
	.set _Z24reshape_and_cache_kernelI14__hip_bfloat16hL18Fp8KVCacheDataType1EEvPKT_S4_PT0_S6_PKliiiiiiff.uses_flat_scratch, 0
	.set _Z24reshape_and_cache_kernelI14__hip_bfloat16hL18Fp8KVCacheDataType1EEvPKT_S4_PT0_S6_PKliiiiiiff.has_dyn_sized_stack, 0
	.set _Z24reshape_and_cache_kernelI14__hip_bfloat16hL18Fp8KVCacheDataType1EEvPKT_S4_PT0_S6_PKliiiiiiff.has_recursion, 0
	.set _Z24reshape_and_cache_kernelI14__hip_bfloat16hL18Fp8KVCacheDataType1EEvPKT_S4_PT0_S6_PKliiiiiiff.has_indirect_call, 0
	.section	.AMDGPU.csdata,"",@progbits
; Kernel info:
; codeLenInByte = 11936
; TotalNumSgprs: 62
; NumVgprs: 43
; ScratchSize: 0
; MemoryBound: 0
; FloatMode: 240
; IeeeMode: 1
; LDSByteSize: 0 bytes/workgroup (compile time only)
; SGPRBlocks: 7
; VGPRBlocks: 10
; NumSGPRsForWavesPerEU: 62
; NumVGPRsForWavesPerEU: 43
; Occupancy: 5
; WaveLimiterHint : 0
; COMPUTE_PGM_RSRC2:SCRATCH_EN: 0
; COMPUTE_PGM_RSRC2:USER_SGPR: 6
; COMPUTE_PGM_RSRC2:TRAP_HANDLER: 0
; COMPUTE_PGM_RSRC2:TGID_X_EN: 1
; COMPUTE_PGM_RSRC2:TGID_Y_EN: 0
; COMPUTE_PGM_RSRC2:TGID_Z_EN: 0
; COMPUTE_PGM_RSRC2:TIDIG_COMP_CNT: 0
	.section	.AMDGPU.gpr_maximums,"",@progbits
	.set amdgpu.max_num_vgpr, 0
	.set amdgpu.max_num_agpr, 0
	.set amdgpu.max_num_sgpr, 0
	.section	.AMDGPU.csdata,"",@progbits
	.type	__hip_cuid_2360f401a53d39e1,@object ; @__hip_cuid_2360f401a53d39e1
	.section	.bss,"aw",@nobits
	.globl	__hip_cuid_2360f401a53d39e1
__hip_cuid_2360f401a53d39e1:
	.byte	0                               ; 0x0
	.size	__hip_cuid_2360f401a53d39e1, 1

	.ident	"AMD clang version 22.0.0git (https://github.com/RadeonOpenCompute/llvm-project roc-7.2.4 26084 f58b06dce1f9c15707c5f808fd002e18c2accf7e)"
	.section	".note.GNU-stack","",@progbits
	.addrsig
	.addrsig_sym __hip_cuid_2360f401a53d39e1
	.amdgpu_metadata
---
amdhsa.kernels:
  - .args:
      - .address_space:  global
        .offset:         0
        .size:           8
        .value_kind:     global_buffer
      - .actual_access:  read_only
        .address_space:  global
        .offset:         8
        .size:           8
        .value_kind:     global_buffer
      - .actual_access:  write_only
        .address_space:  global
        .offset:         16
        .size:           8
        .value_kind:     global_buffer
      - .actual_access:  write_only
        .address_space:  global
        .offset:         24
        .size:           8
        .value_kind:     global_buffer
      - .actual_access:  read_only
        .address_space:  global
        .offset:         32
        .size:           8
        .value_kind:     global_buffer
      - .offset:         40
        .size:           4
        .value_kind:     by_value
      - .offset:         44
        .size:           4
        .value_kind:     by_value
      - .offset:         48
        .size:           4
        .value_kind:     by_value
      - .offset:         52
        .size:           4
        .value_kind:     by_value
      - .offset:         56
        .size:           4
        .value_kind:     by_value
      - .offset:         60
        .size:           4
        .value_kind:     by_value
      - .offset:         64
        .size:           4
        .value_kind:     by_value
      - .offset:         68
        .size:           4
        .value_kind:     by_value
      - .offset:         72
        .size:           4
        .value_kind:     hidden_block_count_x
      - .offset:         76
        .size:           4
        .value_kind:     hidden_block_count_y
      - .offset:         80
        .size:           4
        .value_kind:     hidden_block_count_z
      - .offset:         84
        .size:           2
        .value_kind:     hidden_group_size_x
      - .offset:         86
        .size:           2
        .value_kind:     hidden_group_size_y
      - .offset:         88
        .size:           2
        .value_kind:     hidden_group_size_z
      - .offset:         90
        .size:           2
        .value_kind:     hidden_remainder_x
      - .offset:         92
        .size:           2
        .value_kind:     hidden_remainder_y
      - .offset:         94
        .size:           2
        .value_kind:     hidden_remainder_z
      - .offset:         112
        .size:           8
        .value_kind:     hidden_global_offset_x
      - .offset:         120
        .size:           8
        .value_kind:     hidden_global_offset_y
      - .offset:         128
        .size:           8
        .value_kind:     hidden_global_offset_z
      - .offset:         136
        .size:           2
        .value_kind:     hidden_grid_dims
    .group_segment_fixed_size: 0
    .kernarg_segment_align: 8
    .kernarg_segment_size: 328
    .language:       OpenCL C
    .language_version:
      - 2
      - 0
    .max_flat_workgroup_size: 1024
    .name:           _Z24reshape_and_cache_kernelIfhL18Fp8KVCacheDataType1EEvPKT_S3_PT0_S5_PKliiiiiiff
    .private_segment_fixed_size: 0
    .sgpr_count:     62
    .sgpr_spill_count: 0
    .symbol:         _Z24reshape_and_cache_kernelIfhL18Fp8KVCacheDataType1EEvPKT_S3_PT0_S5_PKliiiiiiff.kd
    .uniform_work_group_size: 1
    .uses_dynamic_stack: false
    .vgpr_count:     39
    .vgpr_spill_count: 0
    .wavefront_size: 64
  - .args:
      - .address_space:  global
        .offset:         0
        .size:           8
        .value_kind:     global_buffer
      - .actual_access:  read_only
        .address_space:  global
        .offset:         8
        .size:           8
        .value_kind:     global_buffer
      - .actual_access:  write_only
        .address_space:  global
        .offset:         16
        .size:           8
        .value_kind:     global_buffer
      - .actual_access:  write_only
        .address_space:  global
        .offset:         24
        .size:           8
        .value_kind:     global_buffer
      - .actual_access:  read_only
        .address_space:  global
        .offset:         32
        .size:           8
        .value_kind:     global_buffer
      - .offset:         40
        .size:           4
        .value_kind:     by_value
      - .offset:         44
        .size:           4
        .value_kind:     by_value
      - .offset:         48
        .size:           4
        .value_kind:     by_value
      - .offset:         52
        .size:           4
        .value_kind:     by_value
      - .offset:         56
        .size:           4
        .value_kind:     by_value
      - .offset:         60
        .size:           4
        .value_kind:     by_value
      - .offset:         64
        .size:           4
        .value_kind:     by_value
      - .offset:         68
        .size:           4
        .value_kind:     by_value
      - .offset:         72
        .size:           4
        .value_kind:     hidden_block_count_x
      - .offset:         76
        .size:           4
        .value_kind:     hidden_block_count_y
      - .offset:         80
        .size:           4
        .value_kind:     hidden_block_count_z
      - .offset:         84
        .size:           2
        .value_kind:     hidden_group_size_x
      - .offset:         86
        .size:           2
        .value_kind:     hidden_group_size_y
      - .offset:         88
        .size:           2
        .value_kind:     hidden_group_size_z
      - .offset:         90
        .size:           2
        .value_kind:     hidden_remainder_x
      - .offset:         92
        .size:           2
        .value_kind:     hidden_remainder_y
      - .offset:         94
        .size:           2
        .value_kind:     hidden_remainder_z
      - .offset:         112
        .size:           8
        .value_kind:     hidden_global_offset_x
      - .offset:         120
        .size:           8
        .value_kind:     hidden_global_offset_y
      - .offset:         128
        .size:           8
        .value_kind:     hidden_global_offset_z
      - .offset:         136
        .size:           2
        .value_kind:     hidden_grid_dims
    .group_segment_fixed_size: 0
    .kernarg_segment_align: 8
    .kernarg_segment_size: 328
    .language:       OpenCL C
    .language_version:
      - 2
      - 0
    .max_flat_workgroup_size: 1024
    .name:           _Z24reshape_and_cache_kernelI14__hip_bfloat16hL18Fp8KVCacheDataType1EEvPKT_S4_PT0_S6_PKliiiiiiff
    .private_segment_fixed_size: 0
    .sgpr_count:     62
    .sgpr_spill_count: 0
    .symbol:         _Z24reshape_and_cache_kernelI14__hip_bfloat16hL18Fp8KVCacheDataType1EEvPKT_S4_PT0_S6_PKliiiiiiff.kd
    .uniform_work_group_size: 1
    .uses_dynamic_stack: false
    .vgpr_count:     43
    .vgpr_spill_count: 0
    .wavefront_size: 64
amdhsa.target:   amdgcn-amd-amdhsa--gfx906
amdhsa.version:
  - 1
  - 2
...

	.end_amdgpu_metadata
